;; amdgpu-corpus repo=ROCm/rocFFT kind=compiled arch=gfx1100 opt=O3
	.text
	.amdgcn_target "amdgcn-amd-amdhsa--gfx1100"
	.amdhsa_code_object_version 6
	.protected	fft_rtc_back_len169_factors_13_13_wgs_156_tpt_13_dp_ip_CI_sbcc ; -- Begin function fft_rtc_back_len169_factors_13_13_wgs_156_tpt_13_dp_ip_CI_sbcc
	.globl	fft_rtc_back_len169_factors_13_13_wgs_156_tpt_13_dp_ip_CI_sbcc
	.p2align	8
	.type	fft_rtc_back_len169_factors_13_13_wgs_156_tpt_13_dp_ip_CI_sbcc,@function
fft_rtc_back_len169_factors_13_13_wgs_156_tpt_13_dp_ip_CI_sbcc: ; @fft_rtc_back_len169_factors_13_13_wgs_156_tpt_13_dp_ip_CI_sbcc
; %bb.0:
	s_load_b128 s[8:11], s[0:1], 0x18
	s_mov_b32 s16, s15
	s_mov_b64 s[22:23], 0
	s_waitcnt lgkmcnt(0)
	s_load_b64 s[14:15], s[8:9], 0x8
	s_waitcnt lgkmcnt(0)
	s_add_u32 s2, s14, -1
	s_addc_u32 s3, s15, -1
	s_add_u32 s4, 0, 0x55540000
	s_addc_u32 s5, 0, 0x55
	s_mul_hi_u32 s7, s4, -12
	s_add_i32 s5, s5, 0x15555500
	s_sub_i32 s7, s7, s4
	s_mul_i32 s13, s5, -12
	s_mul_i32 s6, s4, -12
	s_add_i32 s7, s7, s13
	s_mul_hi_u32 s12, s4, s6
	s_mul_i32 s18, s4, s7
	s_mul_hi_u32 s13, s4, s7
	s_mul_hi_u32 s17, s5, s6
	s_mul_i32 s6, s5, s6
	s_add_u32 s12, s12, s18
	s_addc_u32 s13, 0, s13
	s_mul_hi_u32 s19, s5, s7
	s_add_u32 s6, s12, s6
	s_mul_i32 s7, s5, s7
	s_addc_u32 s6, s13, s17
	s_addc_u32 s12, s19, 0
	s_add_u32 s6, s6, s7
	s_delay_alu instid0(SALU_CYCLE_1) | instskip(SKIP_3) | instid1(VALU_DEP_1)
	v_add_co_u32 v1, s4, s4, s6
	s_addc_u32 s6, 0, s12
	s_cmp_lg_u32 s4, 0
	s_addc_u32 s4, s5, s6
	v_readfirstlane_b32 s5, v1
	s_mul_i32 s7, s2, s4
	s_mul_hi_u32 s6, s2, s4
	s_mul_hi_u32 s12, s3, s4
	s_mul_i32 s4, s3, s4
	s_mul_hi_u32 s13, s2, s5
	s_mul_hi_u32 s17, s3, s5
	s_mul_i32 s5, s3, s5
	s_add_u32 s7, s13, s7
	s_addc_u32 s6, 0, s6
	s_add_u32 s5, s7, s5
	s_addc_u32 s5, s6, s17
	s_addc_u32 s6, s12, 0
	s_add_u32 s4, s5, s4
	s_addc_u32 s5, 0, s6
	s_mul_i32 s7, s4, 12
	s_add_u32 s6, s4, 1
	v_sub_co_u32 v1, s2, s2, s7
	s_mul_hi_u32 s7, s4, 12
	s_addc_u32 s12, s5, 0
	s_mul_i32 s13, s5, 12
	s_delay_alu instid0(VALU_DEP_1)
	v_sub_co_u32 v2, s17, v1, 12
	s_add_u32 s18, s4, 2
	s_addc_u32 s19, s5, 0
	s_add_i32 s7, s7, s13
	s_cmp_lg_u32 s2, 0
	v_readfirstlane_b32 s2, v2
	s_subb_u32 s3, s3, s7
	s_cmp_lg_u32 s17, 0
	s_mov_b32 s17, 0
	s_subb_u32 s7, s3, 0
	s_cmp_gt_u32 s2, 11
	s_cselect_b32 s2, -1, 0
	s_cmp_eq_u32 s7, 0
	v_readfirstlane_b32 s7, v1
	s_cselect_b32 s2, s2, -1
	s_delay_alu instid0(SALU_CYCLE_1)
	s_cmp_lg_u32 s2, 0
	s_cselect_b32 s2, s18, s6
	s_cselect_b32 s6, s19, s12
	s_cmp_gt_u32 s7, 11
	s_cselect_b32 s7, -1, 0
	s_cmp_eq_u32 s3, 0
	s_cselect_b32 s3, s7, -1
	s_delay_alu instid0(SALU_CYCLE_1) | instskip(SKIP_4) | instid1(SALU_CYCLE_1)
	s_cmp_lg_u32 s3, 0
	s_cselect_b32 s2, s2, s4
	s_cselect_b32 s3, s6, s5
	s_add_u32 s18, s2, 1
	s_addc_u32 s19, s3, 0
	v_cmp_lt_u64_e64 s2, s[16:17], s[18:19]
	s_delay_alu instid0(VALU_DEP_1)
	s_and_b32 vcc_lo, exec_lo, s2
	s_cbranch_vccnz .LBB0_2
; %bb.1:
	v_cvt_f32_u32_e32 v1, s18
	s_sub_i32 s3, 0, s18
	s_mov_b32 s23, s17
	s_delay_alu instid0(VALU_DEP_1) | instskip(SKIP_2) | instid1(VALU_DEP_1)
	v_rcp_iflag_f32_e32 v1, v1
	s_waitcnt_depctr 0xfff
	v_mul_f32_e32 v1, 0x4f7ffffe, v1
	v_cvt_u32_f32_e32 v1, v1
	s_delay_alu instid0(VALU_DEP_1) | instskip(NEXT) | instid1(VALU_DEP_1)
	v_readfirstlane_b32 s2, v1
	s_mul_i32 s3, s3, s2
	s_delay_alu instid0(SALU_CYCLE_1) | instskip(NEXT) | instid1(SALU_CYCLE_1)
	s_mul_hi_u32 s3, s2, s3
	s_add_i32 s2, s2, s3
	s_delay_alu instid0(SALU_CYCLE_1) | instskip(NEXT) | instid1(SALU_CYCLE_1)
	s_mul_hi_u32 s2, s16, s2
	s_mul_i32 s3, s2, s18
	s_add_i32 s4, s2, 1
	s_sub_i32 s3, s16, s3
	s_delay_alu instid0(SALU_CYCLE_1)
	s_sub_i32 s5, s3, s18
	s_cmp_ge_u32 s3, s18
	s_cselect_b32 s2, s4, s2
	s_cselect_b32 s3, s5, s3
	s_add_i32 s4, s2, 1
	s_cmp_ge_u32 s3, s18
	s_cselect_b32 s22, s4, s2
.LBB0_2:
	s_load_b128 s[4:7], s[10:11], 0x0
	s_clause 0x2
	s_load_b64 s[20:21], s[0:1], 0x10
	s_load_b64 s[2:3], s[0:1], 0x58
	;; [unrolled: 1-line block ×3, first 2 shown]
	s_mul_i32 s0, s22, s19
	s_mul_hi_u32 s1, s22, s18
	s_mul_i32 s24, s22, s18
	s_add_i32 s1, s1, s0
	s_sub_u32 s35, s16, s24
	s_subb_u32 s0, 0, s1
	s_mul_hi_u32 s34, s35, 12
	s_mul_i32 s0, s0, 12
	s_mul_i32 s35, s35, 12
	s_add_i32 s34, s34, s0
	s_waitcnt lgkmcnt(0)
	s_mul_i32 s0, s6, s34
	v_cmp_lt_u64_e64 s24, s[20:21], 3
	s_mul_hi_u32 s1, s6, s35
	s_mul_i32 s36, s6, s35
	s_add_i32 s0, s1, s0
	s_mul_i32 s1, s7, s35
	s_delay_alu instid0(SALU_CYCLE_1)
	s_add_i32 s33, s0, s1
	s_and_b32 vcc_lo, exec_lo, s24
	s_cbranch_vccnz .LBB0_12
; %bb.3:
	s_add_u32 s0, s10, 16
	s_addc_u32 s1, s11, 0
	s_add_u32 s8, s8, 16
	s_addc_u32 s9, s9, 0
	s_mov_b64 s[24:25], 2
	s_mov_b32 s26, 0
.LBB0_4:                                ; =>This Inner Loop Header: Depth=1
	s_load_b64 s[28:29], s[8:9], 0x0
	s_waitcnt lgkmcnt(0)
	s_or_b64 s[30:31], s[22:23], s[28:29]
	s_delay_alu instid0(SALU_CYCLE_1) | instskip(NEXT) | instid1(SALU_CYCLE_1)
	s_mov_b32 s27, s31
                                        ; implicit-def: $sgpr30_sgpr31
	s_cmp_lg_u64 s[26:27], 0
	s_mov_b32 s27, -1
	s_cbranch_scc0 .LBB0_6
; %bb.5:                                ;   in Loop: Header=BB0_4 Depth=1
	v_cvt_f32_u32_e32 v1, s28
	v_cvt_f32_u32_e32 v2, s29
	s_sub_u32 s31, 0, s28
	s_subb_u32 s37, 0, s29
	s_delay_alu instid0(VALU_DEP_1) | instskip(NEXT) | instid1(VALU_DEP_1)
	v_fmac_f32_e32 v1, 0x4f800000, v2
	v_rcp_f32_e32 v1, v1
	s_waitcnt_depctr 0xfff
	v_mul_f32_e32 v1, 0x5f7ffffc, v1
	s_delay_alu instid0(VALU_DEP_1) | instskip(NEXT) | instid1(VALU_DEP_1)
	v_mul_f32_e32 v2, 0x2f800000, v1
	v_trunc_f32_e32 v2, v2
	s_delay_alu instid0(VALU_DEP_1) | instskip(SKIP_1) | instid1(VALU_DEP_2)
	v_fmac_f32_e32 v1, 0xcf800000, v2
	v_cvt_u32_f32_e32 v2, v2
	v_cvt_u32_f32_e32 v1, v1
	s_delay_alu instid0(VALU_DEP_2) | instskip(NEXT) | instid1(VALU_DEP_2)
	v_readfirstlane_b32 s27, v2
	v_readfirstlane_b32 s30, v1
	s_delay_alu instid0(VALU_DEP_2) | instskip(NEXT) | instid1(VALU_DEP_1)
	s_mul_i32 s38, s31, s27
	s_mul_hi_u32 s40, s31, s30
	s_mul_i32 s39, s37, s30
	s_add_i32 s38, s40, s38
	s_mul_i32 s41, s31, s30
	s_add_i32 s38, s38, s39
	s_mul_hi_u32 s40, s30, s41
	s_mul_hi_u32 s42, s27, s41
	s_mul_i32 s39, s27, s41
	s_mul_hi_u32 s41, s30, s38
	s_mul_i32 s30, s30, s38
	s_mul_hi_u32 s43, s27, s38
	s_add_u32 s30, s40, s30
	s_addc_u32 s40, 0, s41
	s_add_u32 s30, s30, s39
	s_mul_i32 s38, s27, s38
	s_addc_u32 s30, s40, s42
	s_addc_u32 s39, s43, 0
	s_add_u32 s30, s30, s38
	s_addc_u32 s38, 0, s39
	v_add_co_u32 v1, s30, v1, s30
	s_delay_alu instid0(VALU_DEP_1) | instskip(SKIP_1) | instid1(VALU_DEP_1)
	s_cmp_lg_u32 s30, 0
	s_addc_u32 s27, s27, s38
	v_readfirstlane_b32 s30, v1
	s_mul_i32 s38, s31, s27
	s_delay_alu instid0(VALU_DEP_1)
	s_mul_hi_u32 s39, s31, s30
	s_mul_i32 s37, s37, s30
	s_add_i32 s38, s39, s38
	s_mul_i32 s31, s31, s30
	s_add_i32 s38, s38, s37
	s_mul_hi_u32 s39, s27, s31
	s_mul_i32 s40, s27, s31
	s_mul_hi_u32 s31, s30, s31
	s_mul_hi_u32 s41, s30, s38
	s_mul_i32 s30, s30, s38
	s_mul_hi_u32 s37, s27, s38
	s_add_u32 s30, s31, s30
	s_addc_u32 s31, 0, s41
	s_add_u32 s30, s30, s40
	s_mul_i32 s38, s27, s38
	s_addc_u32 s30, s31, s39
	s_addc_u32 s31, s37, 0
	s_add_u32 s30, s30, s38
	s_addc_u32 s31, 0, s31
	v_add_co_u32 v1, s30, v1, s30
	s_delay_alu instid0(VALU_DEP_1) | instskip(SKIP_1) | instid1(VALU_DEP_1)
	s_cmp_lg_u32 s30, 0
	s_addc_u32 s27, s27, s31
	v_readfirstlane_b32 s30, v1
	s_mul_i32 s37, s22, s27
	s_mul_hi_u32 s31, s22, s27
	s_mul_hi_u32 s38, s23, s27
	s_mul_i32 s27, s23, s27
	s_mul_hi_u32 s39, s22, s30
	s_mul_hi_u32 s40, s23, s30
	s_mul_i32 s30, s23, s30
	s_add_u32 s37, s39, s37
	s_addc_u32 s31, 0, s31
	s_add_u32 s30, s37, s30
	s_addc_u32 s30, s31, s40
	s_addc_u32 s31, s38, 0
	s_add_u32 s30, s30, s27
	s_addc_u32 s31, 0, s31
	s_mul_hi_u32 s27, s28, s30
	s_mul_i32 s38, s28, s31
	s_mul_i32 s39, s28, s30
	s_add_i32 s27, s27, s38
	v_sub_co_u32 v1, s38, s22, s39
	s_mul_i32 s37, s29, s30
	s_delay_alu instid0(SALU_CYCLE_1) | instskip(NEXT) | instid1(VALU_DEP_1)
	s_add_i32 s27, s27, s37
	v_sub_co_u32 v2, s39, v1, s28
	s_sub_i32 s37, s23, s27
	s_cmp_lg_u32 s38, 0
	s_subb_u32 s37, s37, s29
	s_cmp_lg_u32 s39, 0
	v_readfirstlane_b32 s39, v2
	s_subb_u32 s37, s37, 0
	s_delay_alu instid0(SALU_CYCLE_1) | instskip(SKIP_1) | instid1(VALU_DEP_1)
	s_cmp_ge_u32 s37, s29
	s_cselect_b32 s40, -1, 0
	s_cmp_ge_u32 s39, s28
	s_cselect_b32 s39, -1, 0
	s_cmp_eq_u32 s37, s29
	s_cselect_b32 s37, s39, s40
	s_add_u32 s39, s30, 1
	s_addc_u32 s40, s31, 0
	s_add_u32 s41, s30, 2
	s_addc_u32 s42, s31, 0
	s_cmp_lg_u32 s37, 0
	s_cselect_b32 s37, s41, s39
	s_cselect_b32 s39, s42, s40
	s_cmp_lg_u32 s38, 0
	v_readfirstlane_b32 s38, v1
	s_subb_u32 s27, s23, s27
	s_delay_alu instid0(SALU_CYCLE_1) | instskip(SKIP_1) | instid1(VALU_DEP_1)
	s_cmp_ge_u32 s27, s29
	s_cselect_b32 s40, -1, 0
	s_cmp_ge_u32 s38, s28
	s_cselect_b32 s38, -1, 0
	s_cmp_eq_u32 s27, s29
	s_cselect_b32 s27, s38, s40
	s_delay_alu instid0(SALU_CYCLE_1)
	s_cmp_lg_u32 s27, 0
	s_mov_b32 s27, 0
	s_cselect_b32 s31, s39, s31
	s_cselect_b32 s30, s37, s30
.LBB0_6:                                ;   in Loop: Header=BB0_4 Depth=1
	s_and_not1_b32 vcc_lo, exec_lo, s27
	s_cbranch_vccnz .LBB0_8
; %bb.7:                                ;   in Loop: Header=BB0_4 Depth=1
	v_cvt_f32_u32_e32 v1, s28
	s_sub_i32 s30, 0, s28
	s_waitcnt_depctr 0xfff
	v_rcp_iflag_f32_e32 v1, v1
	s_waitcnt_depctr 0xfff
	v_mul_f32_e32 v1, 0x4f7ffffe, v1
	s_delay_alu instid0(VALU_DEP_1) | instskip(NEXT) | instid1(VALU_DEP_1)
	v_cvt_u32_f32_e32 v1, v1
	v_readfirstlane_b32 s27, v1
	s_delay_alu instid0(VALU_DEP_1) | instskip(NEXT) | instid1(SALU_CYCLE_1)
	s_mul_i32 s30, s30, s27
	s_mul_hi_u32 s30, s27, s30
	s_delay_alu instid0(SALU_CYCLE_1) | instskip(NEXT) | instid1(SALU_CYCLE_1)
	s_add_i32 s27, s27, s30
	s_mul_hi_u32 s27, s22, s27
	s_delay_alu instid0(SALU_CYCLE_1) | instskip(SKIP_2) | instid1(SALU_CYCLE_1)
	s_mul_i32 s30, s27, s28
	s_add_i32 s31, s27, 1
	s_sub_i32 s30, s22, s30
	s_sub_i32 s37, s30, s28
	s_cmp_ge_u32 s30, s28
	s_cselect_b32 s27, s31, s27
	s_cselect_b32 s30, s37, s30
	s_add_i32 s31, s27, 1
	s_cmp_ge_u32 s30, s28
	s_cselect_b32 s30, s31, s27
	s_mov_b32 s31, s26
.LBB0_8:                                ;   in Loop: Header=BB0_4 Depth=1
	s_load_b64 s[38:39], s[0:1], 0x0
	s_mul_i32 s19, s28, s19
	s_mul_hi_u32 s27, s28, s18
	s_mul_i32 s37, s29, s18
	s_mul_i32 s29, s30, s29
	s_mul_hi_u32 s40, s30, s28
	s_mul_i32 s41, s31, s28
	s_add_i32 s19, s27, s19
	s_add_i32 s27, s40, s29
	s_mul_i32 s42, s30, s28
	s_add_i32 s19, s19, s37
	s_add_i32 s27, s27, s41
	s_sub_u32 s22, s22, s42
	s_subb_u32 s23, s23, s27
	s_mul_i32 s18, s28, s18
	s_waitcnt lgkmcnt(0)
	s_mul_i32 s23, s38, s23
	s_mul_hi_u32 s27, s38, s22
	s_delay_alu instid0(SALU_CYCLE_1)
	s_add_i32 s23, s27, s23
	s_mul_i32 s27, s39, s22
	s_mul_i32 s22, s38, s22
	s_add_i32 s23, s23, s27
	s_add_u32 s36, s22, s36
	s_addc_u32 s33, s23, s33
	s_add_u32 s24, s24, 1
	s_addc_u32 s25, s25, 0
	s_add_u32 s0, s0, 8
	v_cmp_ge_u64_e64 s22, s[24:25], s[20:21]
	s_addc_u32 s1, s1, 0
	s_add_u32 s8, s8, 8
	s_addc_u32 s9, s9, 0
	s_delay_alu instid0(VALU_DEP_1)
	s_and_b32 vcc_lo, exec_lo, s22
	s_cbranch_vccnz .LBB0_10
; %bb.9:                                ;   in Loop: Header=BB0_4 Depth=1
	s_mov_b64 s[22:23], s[30:31]
	s_branch .LBB0_4
.LBB0_10:
	v_cmp_lt_u64_e64 s0, s[16:17], s[18:19]
	s_mov_b64 s[22:23], 0
	s_delay_alu instid0(VALU_DEP_1)
	s_and_b32 vcc_lo, exec_lo, s0
	s_cbranch_vccnz .LBB0_12
; %bb.11:
	v_cvt_f32_u32_e32 v1, s18
	s_sub_i32 s1, 0, s18
	s_delay_alu instid0(VALU_DEP_1) | instskip(SKIP_2) | instid1(VALU_DEP_1)
	v_rcp_iflag_f32_e32 v1, v1
	s_waitcnt_depctr 0xfff
	v_mul_f32_e32 v1, 0x4f7ffffe, v1
	v_cvt_u32_f32_e32 v1, v1
	s_delay_alu instid0(VALU_DEP_1) | instskip(NEXT) | instid1(VALU_DEP_1)
	v_readfirstlane_b32 s0, v1
	s_mul_i32 s1, s1, s0
	s_delay_alu instid0(SALU_CYCLE_1) | instskip(NEXT) | instid1(SALU_CYCLE_1)
	s_mul_hi_u32 s1, s0, s1
	s_add_i32 s0, s0, s1
	s_delay_alu instid0(SALU_CYCLE_1) | instskip(NEXT) | instid1(SALU_CYCLE_1)
	s_mul_hi_u32 s0, s16, s0
	s_mul_i32 s1, s0, s18
	s_add_i32 s8, s0, 1
	s_sub_i32 s1, s16, s1
	s_delay_alu instid0(SALU_CYCLE_1)
	s_sub_i32 s9, s1, s18
	s_cmp_ge_u32 s1, s18
	s_cselect_b32 s0, s8, s0
	s_cselect_b32 s1, s9, s1
	s_add_i32 s8, s0, 1
	s_cmp_ge_u32 s1, s18
	s_cselect_b32 s22, s8, s0
.LBB0_12:
	s_lshl_b64 s[0:1], s[20:21], 3
	v_mul_u32_u24_e32 v1, 0x1556, v0
	s_add_u32 s0, s10, s0
	s_addc_u32 s1, s11, s1
	s_load_b64 s[0:1], s[0:1], 0x0
	s_delay_alu instid0(VALU_DEP_1) | instskip(NEXT) | instid1(VALU_DEP_1)
	v_lshrrev_b32_e32 v91, 16, v1
	v_mul_lo_u16 v1, v91, 12
	v_lshlrev_b32_e32 v2, 4, v91
	v_add_nc_u32_e32 v93, 13, v91
	v_add_nc_u32_e32 v90, 26, v91
	v_add_nc_u32_e32 v89, 39, v91
	v_sub_nc_u16 v1, v0, v1
	scratch_store_b32 off, v2, off offset:4 ; 4-byte Folded Spill
	v_add_nc_u32_e32 v88, 52, v91
	v_add_nc_u32_e32 v87, 0x41, v91
	;; [unrolled: 1-line block ×3, first 2 shown]
	v_and_b32_e32 v94, 0xffff, v1
	v_add_nc_u32_e32 v85, 0x5b, v91
	v_add_nc_u32_e32 v84, 0x68, v91
	;; [unrolled: 1-line block ×3, first 2 shown]
	s_waitcnt lgkmcnt(0)
	s_mul_i32 s1, s1, s22
	s_mul_hi_u32 s8, s0, s22
	s_mul_i32 s0, s0, s22
	v_add_co_u32 v1, s9, s35, v94
	s_add_i32 s8, s8, s1
	v_add_co_ci_u32_e64 v2, null, s34, 0, s9
	s_add_u32 s0, s0, s36
	s_addc_u32 s1, s8, s33
	s_add_u32 s8, s35, 12
	s_addc_u32 s9, s34, 0
	v_cmp_gt_u64_e32 vcc_lo, s[14:15], v[1:2]
	v_cmp_le_u64_e64 s8, s[8:9], s[14:15]
	v_mul_u32_u24_e32 v3, 0xa90, v94
	v_add_nc_u32_e32 v92, 0x82, v91
	v_add_nc_u32_e32 v95, 0x8f, v91
	;; [unrolled: 1-line block ×3, first 2 shown]
	s_or_b32 s33, s8, vcc_lo
	s_clause 0x1
	scratch_store_b32 off, v3, off offset:8
	scratch_store_b32 off, v1, off
	s_and_saveexec_b32 s8, s33
	s_cbranch_execz .LBB0_14
; %bb.13:
	v_mad_u64_u32 v[1:2], null, s6, v94, 0
	v_mad_u64_u32 v[3:4], null, s4, v91, 0
	;; [unrolled: 1-line block ×4, first 2 shown]
	s_lshl_b64 s[10:11], s[0:1], 4
	v_mad_u64_u32 v[17:18], null, s4, v88, 0
	s_delay_alu instid0(VALU_DEP_4) | instskip(SKIP_4) | instid1(VALU_DEP_3)
	v_mad_u64_u32 v[7:8], null, s7, v94, v[2:3]
	v_mad_u64_u32 v[8:9], null, s4, v90, 0
	;; [unrolled: 1-line block ×3, first 2 shown]
	s_add_u32 s9, s2, s10
	s_addc_u32 s10, s3, s11
	v_mov_b32_e32 v2, v7
	s_delay_alu instid0(VALU_DEP_3) | instskip(SKIP_2) | instid1(VALU_DEP_3)
	v_dual_mov_b32 v7, v11 :: v_dual_mov_b32 v4, v9
	v_mad_u64_u32 v[19:20], null, s4, v87, 0
	v_mad_u64_u32 v[25:26], null, s4, v86, 0
	;; [unrolled: 1-line block ×3, first 2 shown]
	s_delay_alu instid0(VALU_DEP_4) | instskip(SKIP_2) | instid1(VALU_DEP_4)
	v_mad_u64_u32 v[14:15], null, s5, v90, v[4:5]
	v_mov_b32_e32 v4, v12
	v_mad_u64_u32 v[27:28], null, s4, v85, 0
	v_dual_mov_b32 v6, v13 :: v_dual_lshlrev_b32 v53, 4, v91
	v_mad_u64_u32 v[33:34], null, s4, v84, 0
	v_mov_b32_e32 v9, v14
	v_lshlrev_b64 v[1:2], 4, v[1:2]
	v_mov_b32_e32 v22, v28
	v_mad_u64_u32 v[35:36], null, s4, v255, 0
	v_mad_u64_u32 v[37:38], null, s4, v92, 0
	s_delay_alu instid0(VALU_DEP_4)
	v_add_co_u32 v49, vcc_lo, s9, v1
	v_add_co_ci_u32_e32 v50, vcc_lo, s10, v2, vcc_lo
	v_lshlrev_b64 v[1:2], 4, v[3:4]
	v_mad_u64_u32 v[3:4], null, s5, v89, v[7:8]
	v_lshlrev_b64 v[4:5], 4, v[5:6]
	v_lshlrev_b64 v[6:7], 4, v[8:9]
	v_add_nc_u32_e32 v46, 0x9c, v91
	v_add_co_u32 v1, vcc_lo, v49, v1
	v_add_co_ci_u32_e32 v2, vcc_lo, v50, v2, vcc_lo
	v_mov_b32_e32 v11, v3
	v_add_co_u32 v8, vcc_lo, v49, v4
	v_add_co_ci_u32_e32 v9, vcc_lo, v50, v5, vcc_lo
	s_delay_alu instid0(VALU_DEP_3) | instskip(SKIP_3) | instid1(VALU_DEP_4)
	v_lshlrev_b64 v[3:4], 4, v[10:11]
	v_add_co_u32 v10, vcc_lo, v49, v6
	v_dual_mov_b32 v6, v20 :: v_dual_mov_b32 v5, v18
	v_add_co_ci_u32_e32 v11, vcc_lo, v50, v7, vcc_lo
	v_add_co_u32 v13, vcc_lo, v49, v3
	s_delay_alu instid0(VALU_DEP_3) | instskip(SKIP_3) | instid1(VALU_DEP_3)
	v_mad_u64_u32 v[20:21], null, s5, v87, v[6:7]
	v_mov_b32_e32 v21, v26
	v_mad_u64_u32 v[15:16], null, s5, v88, v[5:6]
	v_add_co_ci_u32_e32 v14, vcc_lo, v50, v4, vcc_lo
	v_mad_u64_u32 v[23:24], null, s5, v86, v[21:22]
	v_lshlrev_b64 v[19:20], 4, v[19:20]
	v_mad_u64_u32 v[39:40], null, s4, v95, 0
	v_mov_b32_e32 v18, v15
	s_clause 0x3
	global_load_b128 v[1:4], v[1:2], off
	global_load_b128 v[5:8], v[8:9], off
	;; [unrolled: 1-line block ×4, first 2 shown]
	v_mad_u64_u32 v[28:29], null, s5, v85, v[22:23]
	v_mov_b32_e32 v29, v34
	v_lshlrev_b64 v[17:18], 4, v[17:18]
	v_mov_b32_e32 v26, v23
	v_mul_u32_u24_e32 v54, 0xa90, v94
	s_delay_alu instid0(VALU_DEP_4) | instskip(NEXT) | instid1(VALU_DEP_4)
	v_mad_u64_u32 v[30:31], null, s5, v84, v[29:30]
	v_add_co_u32 v17, vcc_lo, v49, v17
	s_delay_alu instid0(VALU_DEP_4)
	v_lshlrev_b64 v[25:26], 4, v[25:26]
	v_add_co_ci_u32_e32 v18, vcc_lo, v50, v18, vcc_lo
	v_add_co_u32 v21, vcc_lo, v49, v19
	v_lshlrev_b64 v[27:28], 4, v[27:28]
	v_add_co_ci_u32_e32 v22, vcc_lo, v50, v20, vcc_lo
	v_add_co_u32 v25, vcc_lo, v49, v25
	v_add_co_ci_u32_e32 v26, vcc_lo, v50, v26, vcc_lo
	s_delay_alu instid0(VALU_DEP_4)
	v_add_co_u32 v31, vcc_lo, v49, v27
	v_mov_b32_e32 v27, v36
	v_add_co_ci_u32_e32 v32, vcc_lo, v50, v28, vcc_lo
	v_mov_b32_e32 v28, v38
	v_mov_b32_e32 v34, v30
	s_clause 0x1
	global_load_b128 v[17:20], v[17:18], off
	global_load_b128 v[21:24], v[21:22], off
	v_add3_u32 v53, 0, v54, v53
	v_mad_u64_u32 v[41:42], null, s5, v255, v[27:28]
	v_mad_u64_u32 v[42:43], null, s5, v92, v[28:29]
	;; [unrolled: 1-line block ×3, first 2 shown]
	v_lshlrev_b64 v[33:34], 4, v[33:34]
	s_clause 0x1
	global_load_b128 v[25:28], v[25:26], off
	global_load_b128 v[29:32], v[31:32], off
	v_mov_b32_e32 v36, v41
	v_mov_b32_e32 v38, v42
	v_mad_u64_u32 v[41:42], null, s5, v95, v[40:41]
	v_mov_b32_e32 v40, v44
	s_delay_alu instid0(VALU_DEP_4)
	v_lshlrev_b64 v[35:36], 4, v[35:36]
	v_add_co_u32 v33, vcc_lo, v49, v33
	v_lshlrev_b64 v[37:38], 4, v[37:38]
	v_add_co_ci_u32_e32 v34, vcc_lo, v50, v34, vcc_lo
	v_mad_u64_u32 v[44:45], null, s5, v46, v[40:41]
	v_mov_b32_e32 v40, v41
	v_add_co_u32 v41, vcc_lo, v49, v35
	v_add_co_ci_u32_e32 v42, vcc_lo, v50, v36, vcc_lo
	s_delay_alu instid0(VALU_DEP_3) | instskip(SKIP_3) | instid1(VALU_DEP_4)
	v_lshlrev_b64 v[35:36], 4, v[39:40]
	v_add_co_u32 v45, vcc_lo, v49, v37
	v_add_co_ci_u32_e32 v46, vcc_lo, v50, v38, vcc_lo
	v_lshlrev_b64 v[37:38], 4, v[43:44]
	v_add_co_u32 v47, vcc_lo, v49, v35
	v_add_co_ci_u32_e32 v48, vcc_lo, v50, v36, vcc_lo
	s_delay_alu instid0(VALU_DEP_3) | instskip(NEXT) | instid1(VALU_DEP_4)
	v_add_co_u32 v49, vcc_lo, v49, v37
	v_add_co_ci_u32_e32 v50, vcc_lo, v50, v38, vcc_lo
	s_clause 0x4
	global_load_b128 v[33:36], v[33:34], off
	global_load_b128 v[37:40], v[41:42], off
	global_load_b128 v[41:44], v[45:46], off
	global_load_b128 v[45:48], v[47:48], off
	global_load_b128 v[49:52], v[49:50], off
	s_waitcnt vmcnt(12)
	ds_store_b128 v53, v[1:4]
	s_waitcnt vmcnt(11)
	ds_store_b128 v53, v[5:8] offset:208
	s_waitcnt vmcnt(10)
	ds_store_b128 v53, v[9:12] offset:416
	;; [unrolled: 2-line block ×12, first 2 shown]
.LBB0_14:
	s_or_b32 exec_lo, exec_lo, s8
	s_add_u32 s8, 0, 0x55540000
	s_addc_u32 s9, 0, 0x55
	s_mul_hi_u32 s11, s8, -12
	s_add_i32 s9, s9, 0x15555500
	v_and_b32_e32 v1, 0xffff, v0
	s_sub_i32 s11, s11, s8
	s_mul_i32 s15, s9, -12
	s_mul_i32 s10, s8, -12
	s_add_i32 s11, s11, s15
	s_mul_hi_u32 s14, s9, s10
	s_mul_i32 s15, s9, s10
	s_mul_i32 s16, s8, s11
	s_mul_hi_u32 s10, s8, s10
	v_mul_u32_u24_e32 v1, 0x13b2, v1
	s_mul_hi_u32 s17, s8, s11
	s_add_u32 s10, s10, s16
	s_addc_u32 s16, 0, s17
	s_mul_hi_u32 s17, s9, s11
	s_add_u32 s10, s10, s15
	s_addc_u32 s10, s16, s14
	s_mul_i32 s11, s9, s11
	v_lshrrev_b32_e32 v5, 16, v1
	s_addc_u32 s14, s17, 0
	s_add_u32 s10, s10, s11
	s_waitcnt lgkmcnt(0)
	s_waitcnt_vscnt null, 0x0
	v_add_co_u32 v6, s8, s8, s10
	s_addc_u32 s10, 0, s14
	s_cmp_lg_u32 s8, 0
	v_add_co_u32 v7, s8, s35, v5
	s_addc_u32 s9, s9, s10
	v_add_co_ci_u32_e64 v8, null, s34, 0, s8
	s_delay_alu instid0(VALU_DEP_2) | instskip(SKIP_1) | instid1(VALU_DEP_3)
	v_mad_u64_u32 v[1:2], null, v7, s9, 0
	v_mul_hi_u32 v9, v7, v6
	v_mad_u64_u32 v[3:4], null, v8, v6, 0
	s_barrier
	buffer_gl0_inv
	s_mov_b32 s46, 0x4267c47c
	s_mov_b32 s28, 0x42a4c3d2
	s_mov_b32 s44, 0x66966769
	v_add_co_u32 v6, vcc_lo, v9, v1
	v_add_co_ci_u32_e32 v9, vcc_lo, 0, v2, vcc_lo
	v_mad_u64_u32 v[1:2], null, v8, s9, 0
	s_delay_alu instid0(VALU_DEP_3) | instskip(NEXT) | instid1(VALU_DEP_3)
	v_add_co_u32 v3, vcc_lo, v6, v3
	v_add_co_ci_u32_e32 v3, vcc_lo, v9, v4, vcc_lo
	s_mov_b32 s24, 0x2ef20147
	s_mov_b32 s30, 0x24c2f84
	s_delay_alu instid0(VALU_DEP_3) | instskip(NEXT) | instid1(VALU_DEP_2)
	v_add_co_ci_u32_e32 v2, vcc_lo, 0, v2, vcc_lo
	v_add_co_u32 v3, vcc_lo, v3, v1
	s_mov_b32 s22, 0x4bc48dbf
	s_delay_alu instid0(VALU_DEP_2) | instskip(NEXT) | instid1(VALU_DEP_2)
	v_add_co_ci_u32_e32 v6, vcc_lo, 0, v2, vcc_lo
	v_mad_u64_u32 v[1:2], null, v3, 12, 0
	s_mov_b32 s18, 0x1ea71119
	s_mov_b32 s16, 0xebaa3ed8
	;; [unrolled: 1-line block ×6, first 2 shown]
	s_delay_alu instid0(VALU_DEP_1)
	v_mad_u64_u32 v[3:4], null, v6, 12, v[2:3]
	v_sub_co_u32 v1, vcc_lo, v7, v1
	s_mov_b32 s31, 0xbfe5384d
	s_mov_b32 s23, 0xbfcea1e5
	;; [unrolled: 1-line block ×4, first 2 shown]
	s_delay_alu instid0(VALU_DEP_2) | instskip(SKIP_2) | instid1(VALU_DEP_2)
	v_sub_co_ci_u32_e32 v2, vcc_lo, v8, v3, vcc_lo
	v_sub_co_u32 v3, vcc_lo, v1, 12
	s_mov_b32 s20, 0xe00740e9
	v_subrev_co_ci_u32_e32 v4, vcc_lo, 0, v2, vcc_lo
	s_delay_alu instid0(VALU_DEP_2)
	v_cmp_lt_u32_e32 vcc_lo, 11, v3
	s_mov_b32 s14, 0xb2365da1
	s_mov_b32 s10, 0xd0032e0c
	;; [unrolled: 1-line block ×4, first 2 shown]
	v_cndmask_b32_e64 v6, 0, -1, vcc_lo
	v_cmp_lt_u32_e32 vcc_lo, 11, v1
	s_mov_b32 s15, 0xbfd6b1d8
	s_mov_b32 s11, 0xbfe7f3cc
	;; [unrolled: 1-line block ×4, first 2 shown]
	v_cndmask_b32_e64 v7, 0, -1, vcc_lo
	v_cmp_eq_u32_e32 vcc_lo, 0, v4
	s_mov_b32 s39, 0x3fefc445
	s_mov_b32 s40, s28
	;; [unrolled: 1-line block ×4, first 2 shown]
	v_cndmask_b32_e32 v4, -1, v6, vcc_lo
	v_cmp_eq_u32_e32 vcc_lo, 0, v2
	v_add_nc_u32_e32 v6, -12, v3
	s_mov_b32 s37, 0x3fedeba7
	s_mov_b32 s35, 0x3fe5384d
	;; [unrolled: 1-line block ×3, first 2 shown]
	v_cndmask_b32_e32 v2, -1, v7, vcc_lo
	v_cmp_ne_u32_e32 vcc_lo, 0, v4
	v_mul_lo_u16 v4, v5, 13
	s_mov_b32 s42, s46
	s_mov_b32 s36, s24
	;; [unrolled: 1-line block ×3, first 2 shown]
	v_cndmask_b32_e32 v3, v3, v6, vcc_lo
	v_cmp_ne_u32_e32 vcc_lo, 0, v2
	v_sub_nc_u16 v0, v0, v4
	s_mov_b32 s26, s22
	s_delay_alu instid0(VALU_DEP_3) | instskip(NEXT) | instid1(VALU_DEP_2)
	v_cndmask_b32_e32 v1, v1, v3, vcc_lo
	v_and_b32_e32 v41, 0xffff, v0
	s_delay_alu instid0(VALU_DEP_2) | instskip(NEXT) | instid1(VALU_DEP_1)
	v_mul_u32_u24_e32 v1, 0xa9, v1
	v_lshlrev_b32_e32 v0, 4, v1
	s_delay_alu instid0(VALU_DEP_3) | instskip(NEXT) | instid1(VALU_DEP_2)
	v_lshlrev_b32_e32 v1, 4, v41
	v_add_nc_u32_e32 v42, 0, v0
	s_delay_alu instid0(VALU_DEP_2) | instskip(NEXT) | instid1(VALU_DEP_2)
	v_add3_u32 v96, 0, v1, v0
	v_add_nc_u32_e32 v40, v42, v1
	ds_load_b128 v[4:7], v96 offset:208
	ds_load_b128 v[0:3], v40
	ds_load_b128 v[8:11], v96 offset:416
	ds_load_b128 v[12:15], v96 offset:624
	;; [unrolled: 1-line block ×4, first 2 shown]
	s_waitcnt lgkmcnt(4)
	v_add_f64 v[16:17], v[0:1], v[4:5]
	v_add_f64 v[18:19], v[2:3], v[6:7]
	s_waitcnt lgkmcnt(3)
	s_delay_alu instid0(VALU_DEP_2) | instskip(NEXT) | instid1(VALU_DEP_2)
	v_add_f64 v[16:17], v[16:17], v[8:9]
	v_add_f64 v[18:19], v[18:19], v[10:11]
	s_waitcnt lgkmcnt(2)
	s_delay_alu instid0(VALU_DEP_2) | instskip(NEXT) | instid1(VALU_DEP_2)
	v_add_f64 v[16:17], v[16:17], v[12:13]
	v_add_f64 v[18:19], v[18:19], v[14:15]
	s_waitcnt lgkmcnt(1)
	s_delay_alu instid0(VALU_DEP_2) | instskip(NEXT) | instid1(VALU_DEP_2)
	v_add_f64 v[16:17], v[16:17], v[43:44]
	v_add_f64 v[18:19], v[18:19], v[45:46]
	s_waitcnt lgkmcnt(0)
	s_delay_alu instid0(VALU_DEP_2) | instskip(NEXT) | instid1(VALU_DEP_2)
	v_add_f64 v[16:17], v[16:17], v[22:23]
	v_add_f64 v[26:27], v[18:19], v[24:25]
	ds_load_b128 v[18:21], v96 offset:1248
	ds_load_b128 v[32:35], v96 offset:1456
	s_waitcnt lgkmcnt(0)
	v_add_f64 v[28:29], v[20:21], v[34:35]
	v_add_f64 v[30:31], v[20:21], -v[34:35]
	v_add_f64 v[36:37], v[16:17], v[18:19]
	v_add_f64 v[26:27], v[26:27], v[20:21]
	;; [unrolled: 1-line block ×3, first 2 shown]
	v_add_f64 v[18:19], v[18:19], -v[32:33]
	v_mul_f64 v[145:146], v[28:29], s[8:9]
	v_mul_f64 v[143:144], v[30:31], s[22:23]
	;; [unrolled: 1-line block ×9, first 2 shown]
	v_add_f64 v[47:48], v[36:37], v[32:33]
	v_add_f64 v[26:27], v[26:27], v[34:35]
	ds_load_b128 v[36:39], v96 offset:1664
	s_waitcnt lgkmcnt(0)
	v_add_f64 v[20:21], v[22:23], v[36:37]
	v_add_f64 v[32:33], v[24:25], v[38:39]
	v_add_f64 v[22:23], v[22:23], -v[36:37]
	v_add_f64 v[34:35], v[24:25], -v[38:39]
	v_add_f64 v[51:52], v[47:48], v[36:37]
	v_add_f64 v[53:54], v[26:27], v[38:39]
	ds_load_b128 v[47:50], v96 offset:1872
	s_waitcnt lgkmcnt(0)
	v_add_f64 v[38:39], v[45:46], -v[49:50]
	v_add_f64 v[36:37], v[45:46], v[49:50]
	v_add_f64 v[24:25], v[43:44], v[47:48]
	v_add_f64 v[26:27], v[43:44], -v[47:48]
	ds_load_b128 v[43:46], v96 offset:2080
	v_mul_f64 v[139:140], v[34:35], s[30:31]
	v_mul_f64 v[141:142], v[32:33], s[10:11]
	;; [unrolled: 1-line block ×8, first 2 shown]
	v_add_f64 v[47:48], v[51:52], v[47:48]
	v_add_f64 v[49:50], v[53:54], v[49:50]
	s_waitcnt lgkmcnt(0)
	v_add_f64 v[51:52], v[14:15], -v[45:46]
	v_add_f64 v[53:54], v[14:15], v[45:46]
	v_add_f64 v[63:64], v[12:13], v[43:44]
	v_add_f64 v[65:66], v[12:13], -v[43:44]
	ds_load_b128 v[12:15], v96 offset:2288
	v_mul_f64 v[135:136], v[38:39], s[24:25]
	v_mul_f64 v[137:138], v[36:37], s[14:15]
	;; [unrolled: 1-line block ×8, first 2 shown]
	s_waitcnt lgkmcnt(0)
	v_add_f64 v[55:56], v[10:11], -v[14:15]
	v_add_f64 v[57:58], v[10:11], v[14:15]
	v_add_f64 v[67:68], v[8:9], v[12:13]
	v_add_f64 v[69:70], v[8:9], -v[12:13]
	ds_load_b128 v[8:11], v96 offset:2496
	s_waitcnt lgkmcnt(0)
	v_add_f64 v[43:44], v[47:48], v[43:44]
	v_add_f64 v[45:46], v[49:50], v[45:46]
	s_barrier
	buffer_gl0_inv
	v_mul_f64 v[131:132], v[51:52], s[44:45]
	v_mul_f64 v[133:134], v[53:54], s[16:17]
	;; [unrolled: 1-line block ×5, first 2 shown]
	v_add_f64 v[47:48], v[4:5], v[8:9]
	v_add_f64 v[49:50], v[4:5], -v[8:9]
	v_mul_f64 v[127:128], v[55:56], s[28:29]
	v_mul_f64 v[129:130], v[57:58], s[18:19]
	v_mul_f64 v[149:150], v[57:58], s[14:15]
	v_mul_f64 v[147:148], v[55:56], s[24:25]
	v_mul_f64 v[165:166], v[55:56], s[22:23]
	v_mul_f64 v[181:182], v[55:56], s[34:35]
	v_add_f64 v[12:13], v[43:44], v[12:13]
	v_add_f64 v[14:15], v[45:46], v[14:15]
	v_add_f64 v[43:44], v[6:7], -v[10:11]
	v_add_f64 v[45:46], v[6:7], v[10:11]
	v_mul_f64 v[197:198], v[55:56], s[38:39]
	v_mul_f64 v[55:56], v[55:56], s[42:43]
	v_add_f64 v[4:5], v[12:13], v[8:9]
	v_add_f64 v[6:7], v[14:15], v[10:11]
	v_mul_f64 v[8:9], v[43:44], s[46:47]
	v_mul_f64 v[10:11], v[43:44], s[28:29]
	;; [unrolled: 1-line block ×10, first 2 shown]
	v_fma_f64 v[61:62], v[47:48], s[20:21], v[8:9]
	v_fma_f64 v[8:9], v[47:48], s[20:21], -v[8:9]
	v_fma_f64 v[71:72], v[47:48], s[18:19], v[10:11]
	v_fma_f64 v[10:11], v[47:48], s[18:19], -v[10:11]
	;; [unrolled: 2-line block ×6, first 2 shown]
	v_mul_f64 v[47:48], v[45:46], s[20:21]
	v_mul_f64 v[45:46], v[45:46], s[8:9]
	v_fma_f64 v[109:110], v[49:50], s[40:41], v[99:100]
	v_fma_f64 v[111:112], v[49:50], s[38:39], v[101:102]
	v_fma_f64 v[99:100], v[49:50], s[28:29], v[99:100]
	v_fma_f64 v[101:102], v[49:50], s[44:45], v[101:102]
	v_fma_f64 v[113:114], v[49:50], s[36:37], v[103:104]
	v_fma_f64 v[103:104], v[49:50], s[24:25], v[103:104]
	v_fma_f64 v[115:116], v[49:50], s[34:35], v[105:106]
	v_fma_f64 v[105:106], v[49:50], s[30:31], v[105:106]
	v_add_f64 v[119:120], v[0:1], v[61:62]
	v_add_f64 v[8:9], v[0:1], v[8:9]
	;; [unrolled: 1-line block ×9, first 2 shown]
	v_fma_f64 v[107:108], v[49:50], s[42:43], v[47:48]
	v_fma_f64 v[47:48], v[49:50], s[46:47], v[47:48]
	;; [unrolled: 1-line block ×4, first 2 shown]
	v_add_f64 v[49:50], v[0:1], v[71:72]
	v_add_f64 v[61:62], v[2:3], v[109:110]
	;; [unrolled: 1-line block ×5, first 2 shown]
	v_fma_f64 v[0:1], v[67:68], s[18:19], -v[127:128]
	v_add_f64 v[99:100], v[2:3], v[99:100]
	v_add_f64 v[101:102], v[2:3], v[101:102]
	;; [unrolled: 1-line block ×6, first 2 shown]
	v_fma_f64 v[10:11], v[69:70], s[36:37], v[149:150]
	v_add_f64 v[107:108], v[2:3], v[107:108]
	v_add_f64 v[47:48], v[2:3], v[47:48]
	;; [unrolled: 1-line block ×4, first 2 shown]
	v_fma_f64 v[2:3], v[69:70], s[28:29], v[129:130]
	v_add_f64 v[0:1], v[0:1], v[8:9]
	v_fma_f64 v[8:9], v[63:64], s[16:17], -v[131:132]
	v_add_f64 v[10:11], v[10:11], v[61:62]
	v_mul_f64 v[61:62], v[51:52], s[22:23]
	v_add_f64 v[2:3], v[2:3], v[47:48]
	s_delay_alu instid0(VALU_DEP_4) | instskip(SKIP_1) | instid1(VALU_DEP_4)
	v_add_f64 v[0:1], v[8:9], v[0:1]
	v_fma_f64 v[8:9], v[65:66], s[44:45], v[133:134]
	v_fma_f64 v[12:13], v[63:64], s[8:9], v[61:62]
	v_fma_f64 v[61:62], v[63:64], s[8:9], -v[61:62]
	s_delay_alu instid0(VALU_DEP_3) | instskip(SKIP_1) | instid1(VALU_DEP_1)
	v_add_f64 v[2:3], v[8:9], v[2:3]
	v_fma_f64 v[8:9], v[24:25], s[14:15], -v[135:136]
	v_add_f64 v[0:1], v[8:9], v[0:1]
	v_fma_f64 v[8:9], v[26:27], s[24:25], v[137:138]
	s_delay_alu instid0(VALU_DEP_1) | instskip(SKIP_1) | instid1(VALU_DEP_1)
	v_add_f64 v[2:3], v[8:9], v[2:3]
	v_fma_f64 v[8:9], v[20:21], s[10:11], -v[139:140]
	v_add_f64 v[0:1], v[8:9], v[0:1]
	v_fma_f64 v[8:9], v[22:23], s[30:31], v[141:142]
	s_delay_alu instid0(VALU_DEP_1) | instskip(SKIP_1) | instid1(VALU_DEP_1)
	;; [unrolled: 5-line block ×3, first 2 shown]
	v_add_f64 v[2:3], v[8:9], v[2:3]
	v_fma_f64 v[8:9], v[67:68], s[14:15], v[147:148]
	v_add_f64 v[8:9], v[8:9], v[49:50]
	s_delay_alu instid0(VALU_DEP_1) | instskip(SKIP_1) | instid1(VALU_DEP_1)
	v_add_f64 v[8:9], v[12:13], v[8:9]
	v_fma_f64 v[12:13], v[65:66], s[26:27], v[151:152]
	v_add_f64 v[10:11], v[12:13], v[10:11]
	v_fma_f64 v[12:13], v[24:25], s[10:11], v[153:154]
	s_delay_alu instid0(VALU_DEP_1) | instskip(SKIP_1) | instid1(VALU_DEP_1)
	v_add_f64 v[8:9], v[12:13], v[8:9]
	v_fma_f64 v[12:13], v[26:27], s[30:31], v[155:156]
	v_add_f64 v[10:11], v[12:13], v[10:11]
	v_fma_f64 v[12:13], v[20:21], s[16:17], v[157:158]
	;; [unrolled: 5-line block ×4, first 2 shown]
	s_delay_alu instid0(VALU_DEP_1) | instskip(SKIP_1) | instid1(VALU_DEP_1)
	v_add_f64 v[12:13], v[12:13], v[73:74]
	v_mul_f64 v[73:74], v[57:58], s[8:9]
	v_fma_f64 v[14:15], v[69:70], s[26:27], v[73:74]
	s_delay_alu instid0(VALU_DEP_1) | instskip(SKIP_1) | instid1(VALU_DEP_1)
	v_add_f64 v[14:15], v[14:15], v[109:110]
	v_mul_f64 v[109:110], v[51:52], s[36:37]
	v_fma_f64 v[43:44], v[63:64], s[14:15], v[109:110]
	s_delay_alu instid0(VALU_DEP_1) | instskip(SKIP_1) | instid1(VALU_DEP_1)
	v_add_f64 v[12:13], v[43:44], v[12:13]
	v_fma_f64 v[43:44], v[65:66], s[24:25], v[167:168]
	v_add_f64 v[14:15], v[43:44], v[14:15]
	v_fma_f64 v[43:44], v[24:25], s[20:21], v[169:170]
	s_delay_alu instid0(VALU_DEP_1) | instskip(SKIP_1) | instid1(VALU_DEP_1)
	v_add_f64 v[12:13], v[43:44], v[12:13]
	v_fma_f64 v[43:44], v[26:27], s[46:47], v[171:172]
	v_add_f64 v[14:15], v[43:44], v[14:15]
	;; [unrolled: 5-line block ×4, first 2 shown]
	v_fma_f64 v[43:44], v[67:68], s[10:11], v[181:182]
	s_delay_alu instid0(VALU_DEP_1) | instskip(SKIP_1) | instid1(VALU_DEP_1)
	v_add_f64 v[43:44], v[43:44], v[75:76]
	v_mul_f64 v[75:76], v[57:58], s[10:11]
	v_fma_f64 v[45:46], v[69:70], s[30:31], v[75:76]
	s_delay_alu instid0(VALU_DEP_1) | instskip(SKIP_1) | instid1(VALU_DEP_1)
	v_add_f64 v[45:46], v[45:46], v[113:114]
	v_mul_f64 v[113:114], v[51:52], s[42:43]
	v_fma_f64 v[47:48], v[63:64], s[20:21], v[113:114]
	s_delay_alu instid0(VALU_DEP_1) | instskip(SKIP_1) | instid1(VALU_DEP_1)
	v_add_f64 v[43:44], v[47:48], v[43:44]
	v_fma_f64 v[47:48], v[65:66], s[46:47], v[183:184]
	v_add_f64 v[45:46], v[47:48], v[45:46]
	v_fma_f64 v[47:48], v[24:25], s[16:17], v[185:186]
	s_delay_alu instid0(VALU_DEP_1) | instskip(SKIP_1) | instid1(VALU_DEP_1)
	v_add_f64 v[43:44], v[47:48], v[43:44]
	v_fma_f64 v[47:48], v[26:27], s[38:39], v[187:188]
	v_add_f64 v[45:46], v[47:48], v[45:46]
	;; [unrolled: 5-line block ×4, first 2 shown]
	v_fma_f64 v[47:48], v[67:68], s[16:17], v[197:198]
	s_delay_alu instid0(VALU_DEP_1) | instskip(SKIP_2) | instid1(VALU_DEP_2)
	v_add_f64 v[47:48], v[47:48], v[77:78]
	v_mul_f64 v[77:78], v[57:58], s[16:17]
	v_mul_f64 v[57:58], v[57:58], s[20:21]
	v_fma_f64 v[49:50], v[69:70], s[44:45], v[77:78]
	s_delay_alu instid0(VALU_DEP_1) | instskip(SKIP_2) | instid1(VALU_DEP_2)
	v_add_f64 v[49:50], v[49:50], v[115:116]
	v_mul_f64 v[115:116], v[51:52], s[28:29]
	v_mul_f64 v[51:52], v[51:52], s[30:31]
	;; [unrolled: 5-line block ×7, first 2 shown]
	v_fma_f64 v[209:210], v[22:23], s[46:47], v[207:208]
	s_delay_alu instid0(VALU_DEP_1) | instskip(SKIP_1) | instid1(VALU_DEP_1)
	v_add_f64 v[49:50], v[209:210], v[49:50]
	v_mul_f64 v[209:210], v[30:31], s[24:25]
	v_fma_f64 v[211:212], v[16:17], s[14:15], v[209:210]
	s_delay_alu instid0(VALU_DEP_1) | instskip(SKIP_1) | instid1(VALU_DEP_1)
	v_add_f64 v[47:48], v[211:212], v[47:48]
	v_mul_f64 v[211:212], v[28:29], s[14:15]
	v_fma_f64 v[213:214], v[18:19], s[36:37], v[211:212]
	s_delay_alu instid0(VALU_DEP_1) | instskip(SKIP_2) | instid1(VALU_DEP_2)
	v_add_f64 v[49:50], v[213:214], v[49:50]
	v_fma_f64 v[213:214], v[67:68], s[20:21], v[55:56]
	v_fma_f64 v[55:56], v[67:68], s[20:21], -v[55:56]
	v_add_f64 v[97:98], v[213:214], v[97:98]
	v_fma_f64 v[213:214], v[69:70], s[46:47], v[57:58]
	v_fma_f64 v[57:58], v[69:70], s[42:43], v[57:58]
	s_delay_alu instid0(VALU_DEP_4) | instskip(NEXT) | instid1(VALU_DEP_3)
	v_add_f64 v[55:56], v[55:56], v[123:124]
	v_add_f64 v[117:118], v[213:214], v[117:118]
	v_fma_f64 v[213:214], v[63:64], s[10:11], v[51:52]
	s_delay_alu instid0(VALU_DEP_4) | instskip(SKIP_1) | instid1(VALU_DEP_3)
	v_add_f64 v[57:58], v[57:58], v[125:126]
	v_fma_f64 v[51:52], v[63:64], s[10:11], -v[51:52]
	v_add_f64 v[97:98], v[213:214], v[97:98]
	v_fma_f64 v[213:214], v[65:66], s[34:35], v[53:54]
	v_fma_f64 v[53:54], v[65:66], s[30:31], v[53:54]
	s_delay_alu instid0(VALU_DEP_4) | instskip(SKIP_1) | instid1(VALU_DEP_4)
	v_add_f64 v[51:52], v[51:52], v[55:56]
	v_fma_f64 v[55:56], v[63:64], s[20:21], -v[113:114]
	v_add_f64 v[117:118], v[213:214], v[117:118]
	v_fma_f64 v[213:214], v[24:25], s[18:19], v[38:39]
	v_add_f64 v[53:54], v[53:54], v[57:58]
	v_fma_f64 v[38:39], v[24:25], s[18:19], -v[38:39]
	v_fma_f64 v[57:58], v[18:19], s[40:41], v[195:196]
	s_delay_alu instid0(VALU_DEP_4) | instskip(SKIP_4) | instid1(VALU_DEP_4)
	v_add_f64 v[97:98], v[213:214], v[97:98]
	v_fma_f64 v[213:214], v[26:27], s[28:29], v[36:37]
	v_fma_f64 v[36:37], v[26:27], s[40:41], v[36:37]
	v_add_f64 v[38:39], v[38:39], v[51:52]
	v_fma_f64 v[51:52], v[63:64], s[18:19], -v[115:116]
	v_add_f64 v[117:118], v[213:214], v[117:118]
	v_fma_f64 v[213:214], v[20:21], s[14:15], v[34:35]
	v_add_f64 v[36:37], v[36:37], v[53:54]
	v_fma_f64 v[34:35], v[20:21], s[14:15], -v[34:35]
	v_fma_f64 v[53:54], v[18:19], s[24:25], v[211:212]
	s_delay_alu instid0(VALU_DEP_4) | instskip(SKIP_4) | instid1(VALU_DEP_4)
	v_add_f64 v[97:98], v[213:214], v[97:98]
	v_fma_f64 v[213:214], v[22:23], s[36:37], v[32:33]
	v_fma_f64 v[32:33], v[22:23], s[24:25], v[32:33]
	v_add_f64 v[34:35], v[34:35], v[38:39]
	v_fma_f64 v[38:39], v[18:19], s[38:39], v[215:216]
	v_add_f64 v[117:118], v[213:214], v[117:118]
	v_mul_f64 v[213:214], v[30:31], s[38:39]
	v_add_f64 v[36:37], v[32:33], v[36:37]
	v_fma_f64 v[30:31], v[18:19], s[44:45], v[215:216]
	s_delay_alu instid0(VALU_DEP_3) | instskip(SKIP_1) | instid1(VALU_DEP_3)
	v_fma_f64 v[32:33], v[16:17], s[16:17], -v[213:214]
	v_fma_f64 v[28:29], v[16:17], s[16:17], v[213:214]
	v_add_f64 v[30:31], v[30:31], v[117:118]
	s_delay_alu instid0(VALU_DEP_3) | instskip(SKIP_4) | instid1(VALU_DEP_3)
	v_add_f64 v[32:33], v[32:33], v[34:35]
	v_add_f64 v[34:35], v[38:39], v[36:37]
	v_fma_f64 v[36:37], v[67:68], s[16:17], -v[197:198]
	v_fma_f64 v[38:39], v[69:70], s[38:39], v[77:78]
	v_add_f64 v[28:29], v[28:29], v[97:98]
	v_add_f64 v[36:37], v[36:37], v[59:60]
	s_delay_alu instid0(VALU_DEP_3) | instskip(SKIP_2) | instid1(VALU_DEP_4)
	v_add_f64 v[38:39], v[38:39], v[105:106]
	v_fma_f64 v[59:60], v[63:64], s[14:15], -v[109:110]
	v_fma_f64 v[63:64], v[63:64], s[16:17], v[131:132]
	v_add_f64 v[36:37], v[51:52], v[36:37]
	v_fma_f64 v[51:52], v[65:66], s[28:29], v[199:200]
	s_delay_alu instid0(VALU_DEP_1) | instskip(SKIP_1) | instid1(VALU_DEP_1)
	v_add_f64 v[38:39], v[51:52], v[38:39]
	v_fma_f64 v[51:52], v[24:25], s[8:9], -v[201:202]
	v_add_f64 v[36:37], v[51:52], v[36:37]
	v_fma_f64 v[51:52], v[26:27], s[26:27], v[203:204]
	s_delay_alu instid0(VALU_DEP_1) | instskip(SKIP_1) | instid1(VALU_DEP_1)
	v_add_f64 v[38:39], v[51:52], v[38:39]
	v_fma_f64 v[51:52], v[20:21], s[20:21], -v[205:206]
	v_add_f64 v[36:37], v[51:52], v[36:37]
	v_fma_f64 v[51:52], v[22:23], s[42:43], v[207:208]
	s_delay_alu instid0(VALU_DEP_1) | instskip(SKIP_1) | instid1(VALU_DEP_2)
	v_add_f64 v[38:39], v[51:52], v[38:39]
	v_fma_f64 v[51:52], v[16:17], s[14:15], -v[209:210]
	v_add_f64 v[38:39], v[53:54], v[38:39]
	s_delay_alu instid0(VALU_DEP_2) | instskip(SKIP_2) | instid1(VALU_DEP_2)
	v_add_f64 v[36:37], v[51:52], v[36:37]
	v_fma_f64 v[51:52], v[67:68], s[10:11], -v[181:182]
	v_fma_f64 v[53:54], v[69:70], s[34:35], v[75:76]
	v_add_f64 v[51:52], v[51:52], v[121:122]
	s_delay_alu instid0(VALU_DEP_2) | instskip(NEXT) | instid1(VALU_DEP_2)
	v_add_f64 v[53:54], v[53:54], v[103:104]
	v_add_f64 v[51:52], v[55:56], v[51:52]
	v_fma_f64 v[55:56], v[65:66], s[42:43], v[183:184]
	s_delay_alu instid0(VALU_DEP_1) | instskip(SKIP_1) | instid1(VALU_DEP_1)
	v_add_f64 v[53:54], v[55:56], v[53:54]
	v_fma_f64 v[55:56], v[24:25], s[16:17], -v[185:186]
	v_add_f64 v[51:52], v[55:56], v[51:52]
	v_fma_f64 v[55:56], v[26:27], s[44:45], v[187:188]
	s_delay_alu instid0(VALU_DEP_1) | instskip(SKIP_1) | instid1(VALU_DEP_1)
	v_add_f64 v[53:54], v[55:56], v[53:54]
	v_fma_f64 v[55:56], v[20:21], s[8:9], -v[189:190]
	v_add_f64 v[51:52], v[55:56], v[51:52]
	v_fma_f64 v[55:56], v[22:23], s[26:27], v[191:192]
	s_delay_alu instid0(VALU_DEP_1) | instskip(SKIP_1) | instid1(VALU_DEP_2)
	v_add_f64 v[53:54], v[55:56], v[53:54]
	v_fma_f64 v[55:56], v[16:17], s[18:19], -v[193:194]
	v_add_f64 v[53:54], v[57:58], v[53:54]
	s_delay_alu instid0(VALU_DEP_2) | instskip(SKIP_3) | instid1(VALU_DEP_3)
	v_add_f64 v[51:52], v[55:56], v[51:52]
	v_fma_f64 v[55:56], v[67:68], s[8:9], -v[165:166]
	v_fma_f64 v[57:58], v[69:70], s[22:23], v[73:74]
	v_fma_f64 v[73:74], v[18:19], s[30:31], v[179:180]
	v_add_f64 v[55:56], v[55:56], v[111:112]
	s_delay_alu instid0(VALU_DEP_3) | instskip(NEXT) | instid1(VALU_DEP_2)
	v_add_f64 v[57:58], v[57:58], v[101:102]
	v_add_f64 v[55:56], v[59:60], v[55:56]
	v_fma_f64 v[59:60], v[65:66], s[36:37], v[167:168]
	s_delay_alu instid0(VALU_DEP_1) | instskip(SKIP_1) | instid1(VALU_DEP_1)
	v_add_f64 v[57:58], v[59:60], v[57:58]
	v_fma_f64 v[59:60], v[24:25], s[20:21], -v[169:170]
	v_add_f64 v[55:56], v[59:60], v[55:56]
	v_fma_f64 v[59:60], v[26:27], s[42:43], v[171:172]
	s_delay_alu instid0(VALU_DEP_1) | instskip(SKIP_1) | instid1(VALU_DEP_1)
	v_add_f64 v[57:58], v[59:60], v[57:58]
	v_fma_f64 v[59:60], v[20:21], s[18:19], -v[173:174]
	v_add_f64 v[55:56], v[59:60], v[55:56]
	v_fma_f64 v[59:60], v[22:23], s[28:29], v[175:176]
	s_delay_alu instid0(VALU_DEP_1) | instskip(SKIP_1) | instid1(VALU_DEP_2)
	v_add_f64 v[57:58], v[59:60], v[57:58]
	v_fma_f64 v[59:60], v[16:17], s[10:11], -v[177:178]
	v_add_f64 v[57:58], v[73:74], v[57:58]
	s_delay_alu instid0(VALU_DEP_2) | instskip(SKIP_4) | instid1(VALU_DEP_4)
	v_add_f64 v[55:56], v[59:60], v[55:56]
	v_fma_f64 v[59:60], v[67:68], s[14:15], -v[147:148]
	v_fma_f64 v[67:68], v[67:68], s[18:19], v[127:128]
	v_fma_f64 v[73:74], v[18:19], s[42:43], v[163:164]
	;; [unrolled: 1-line block ×3, first 2 shown]
	v_add_f64 v[59:60], v[59:60], v[71:72]
	v_fma_f64 v[71:72], v[69:70], s[24:25], v[149:150]
	v_fma_f64 v[69:70], v[69:70], s[40:41], v[129:130]
	v_add_f64 v[67:68], v[67:68], v[119:120]
	s_delay_alu instid0(VALU_DEP_4) | instskip(NEXT) | instid1(VALU_DEP_4)
	v_add_f64 v[59:60], v[61:62], v[59:60]
	v_add_f64 v[71:72], v[71:72], v[99:100]
	v_fma_f64 v[61:62], v[65:66], s[22:23], v[151:152]
	v_fma_f64 v[65:66], v[65:66], s[38:39], v[133:134]
	v_add_f64 v[69:70], v[69:70], v[107:108]
	v_add_f64 v[63:64], v[63:64], v[67:68]
	s_delay_alu instid0(VALU_DEP_4) | instskip(SKIP_3) | instid1(VALU_DEP_3)
	v_add_f64 v[61:62], v[61:62], v[71:72]
	v_fma_f64 v[71:72], v[24:25], s[10:11], -v[153:154]
	v_fma_f64 v[24:25], v[24:25], s[14:15], v[135:136]
	v_add_f64 v[65:66], v[65:66], v[69:70]
	v_add_f64 v[59:60], v[71:72], v[59:60]
	v_fma_f64 v[71:72], v[26:27], s[34:35], v[155:156]
	v_fma_f64 v[26:27], v[26:27], s[36:37], v[137:138]
	v_add_f64 v[24:25], v[24:25], v[63:64]
	s_delay_alu instid0(VALU_DEP_3) | instskip(SKIP_3) | instid1(VALU_DEP_3)
	v_add_f64 v[61:62], v[71:72], v[61:62]
	v_fma_f64 v[71:72], v[20:21], s[16:17], -v[157:158]
	v_fma_f64 v[20:21], v[20:21], s[10:11], v[139:140]
	v_add_f64 v[26:27], v[26:27], v[65:66]
	v_add_f64 v[59:60], v[71:72], v[59:60]
	v_fma_f64 v[71:72], v[22:23], s[38:39], v[159:160]
	v_fma_f64 v[22:23], v[22:23], s[34:35], v[141:142]
	v_add_f64 v[20:21], v[20:21], v[24:25]
	s_delay_alu instid0(VALU_DEP_3) | instskip(SKIP_3) | instid1(VALU_DEP_4)
	v_add_f64 v[61:62], v[71:72], v[61:62]
	v_fma_f64 v[71:72], v[16:17], s[20:21], -v[161:162]
	v_fma_f64 v[16:17], v[16:17], s[8:9], v[143:144]
	v_add_f64 v[22:23], v[22:23], v[26:27]
	v_add_f64 v[61:62], v[73:74], v[61:62]
	s_delay_alu instid0(VALU_DEP_4) | instskip(NEXT) | instid1(VALU_DEP_4)
	v_add_f64 v[59:60], v[71:72], v[59:60]
	v_add_f64 v[16:17], v[16:17], v[20:21]
	s_delay_alu instid0(VALU_DEP_4)
	v_add_f64 v[18:19], v[18:19], v[22:23]
	v_mad_u32_u24 v20, 0xd0, v41, v42
	ds_store_b128 v20, v[8:11] offset:32
	ds_store_b128 v20, v[12:15] offset:48
	;; [unrolled: 1-line block ×3, first 2 shown]
	v_mul_u32_u24_e32 v8, 12, v41
	ds_store_b128 v20, v[47:50] offset:80
	ds_store_b128 v20, v[28:31] offset:96
	;; [unrolled: 1-line block ×9, first 2 shown]
	ds_store_b128 v20, v[4:7]
	v_lshlrev_b32_e32 v41, 4, v8
	s_waitcnt lgkmcnt(0)
	s_barrier
	buffer_gl0_inv
	s_clause 0x4
	global_load_b128 v[4:7], v41, s[12:13]
	global_load_b128 v[8:11], v41, s[12:13] offset:176
	global_load_b128 v[12:15], v41, s[12:13] offset:16
	global_load_b128 v[18:21], v41, s[12:13] offset:160
	global_load_b128 v[22:25], v41, s[12:13] offset:32
	ds_load_b128 v[26:29], v96 offset:208
	ds_load_b128 v[0:3], v40
	ds_load_b128 v[30:33], v96 offset:2496
	s_waitcnt vmcnt(4) lgkmcnt(2)
	v_mul_f64 v[16:17], v[26:27], v[6:7]
	v_mul_f64 v[6:7], v[28:29], v[6:7]
	s_waitcnt vmcnt(3) lgkmcnt(0)
	v_mul_f64 v[38:39], v[30:31], v[10:11]
	v_mul_f64 v[10:11], v[32:33], v[10:11]
	s_delay_alu instid0(VALU_DEP_4) | instskip(NEXT) | instid1(VALU_DEP_4)
	v_fma_f64 v[50:51], v[28:29], v[4:5], -v[16:17]
	v_fma_f64 v[48:49], v[26:27], v[4:5], v[6:7]
	ds_load_b128 v[26:29], v96 offset:416
	ds_load_b128 v[34:37], v96 offset:624
	v_fma_f64 v[4:5], v[32:33], v[8:9], -v[38:39]
	v_fma_f64 v[6:7], v[30:31], v[8:9], v[10:11]
	ds_load_b128 v[30:33], v96 offset:2288
	s_waitcnt vmcnt(2) lgkmcnt(2)
	v_mul_f64 v[16:17], v[26:27], v[14:15]
	v_mul_f64 v[8:9], v[28:29], v[14:15]
	v_add_f64 v[64:65], v[48:49], v[6:7]
	v_add_f64 v[105:106], v[48:49], -v[6:7]
	v_add_f64 v[48:49], v[0:1], v[48:49]
	v_fma_f64 v[14:15], v[28:29], v[12:13], -v[16:17]
	v_fma_f64 v[16:17], v[26:27], v[12:13], v[8:9]
	ds_load_b128 v[26:29], v96 offset:2080
	s_waitcnt vmcnt(1) lgkmcnt(1)
	v_mul_f64 v[8:9], v[30:31], v[20:21]
	v_mul_f64 v[10:11], v[32:33], v[20:21]
	s_waitcnt vmcnt(0)
	v_mul_f64 v[12:13], v[34:35], v[24:25]
	s_delay_alu instid0(VALU_DEP_3) | instskip(NEXT) | instid1(VALU_DEP_3)
	v_fma_f64 v[8:9], v[32:33], v[18:19], -v[8:9]
	v_fma_f64 v[10:11], v[30:31], v[18:19], v[10:11]
	v_mul_f64 v[18:19], v[36:37], v[24:25]
	global_load_b128 v[30:33], v41, s[12:13] offset:48
	v_fma_f64 v[20:21], v[36:37], v[22:23], -v[12:13]
	v_add_f64 v[131:132], v[14:15], -v[8:9]
	v_add_f64 v[133:134], v[14:15], v[8:9]
	v_fma_f64 v[22:23], v[34:35], v[22:23], v[18:19]
	s_clause 0x1
	global_load_b128 v[34:37], v41, s[12:13] offset:144
	global_load_b128 v[42:45], v41, s[12:13] offset:128
	v_mul_f64 v[179:180], v[131:132], s[24:25]
	v_mul_f64 v[181:182], v[133:134], s[14:15]
	;; [unrolled: 1-line block ×8, first 2 shown]
	s_waitcnt vmcnt(1) lgkmcnt(0)
	v_mul_f64 v[12:13], v[26:27], v[36:37]
	v_mul_f64 v[18:19], v[28:29], v[36:37]
	s_delay_alu instid0(VALU_DEP_2) | instskip(NEXT) | instid1(VALU_DEP_2)
	v_fma_f64 v[12:13], v[28:29], v[34:35], -v[12:13]
	v_fma_f64 v[18:19], v[26:27], v[34:35], v[18:19]
	ds_load_b128 v[24:27], v96 offset:832
	ds_load_b128 v[34:37], v96 offset:1040
	;; [unrolled: 1-line block ×4, first 2 shown]
	s_waitcnt lgkmcnt(3)
	v_mul_f64 v[28:29], v[24:25], v[32:33]
	v_add_f64 v[135:136], v[20:21], -v[12:13]
	v_add_f64 v[137:138], v[20:21], v[12:13]
	v_add_f64 v[139:140], v[22:23], -v[18:19]
	s_delay_alu instid0(VALU_DEP_4)
	v_fma_f64 v[28:29], v[26:27], v[30:31], -v[28:29]
	v_mul_f64 v[26:27], v[26:27], v[32:33]
	v_mul_f64 v[183:184], v[135:136], s[22:23]
	;; [unrolled: 1-line block ×10, first 2 shown]
	v_fma_f64 v[30:31], v[24:25], v[30:31], v[26:27]
	s_waitcnt vmcnt(0) lgkmcnt(1)
	v_mul_f64 v[24:25], v[52:53], v[44:45]
	v_mul_f64 v[26:27], v[54:55], v[44:45]
	s_delay_alu instid0(VALU_DEP_2) | instskip(NEXT) | instid1(VALU_DEP_2)
	v_fma_f64 v[24:25], v[54:55], v[42:43], -v[24:25]
	v_fma_f64 v[26:27], v[52:53], v[42:43], v[26:27]
	s_clause 0x1
	global_load_b128 v[42:45], v41, s[12:13] offset:64
	global_load_b128 v[52:55], v41, s[12:13] offset:80
	v_add_f64 v[143:144], v[28:29], -v[24:25]
	v_add_f64 v[145:146], v[30:31], v[26:27]
	v_add_f64 v[149:150], v[28:29], v[24:25]
	v_add_f64 v[151:152], v[30:31], -v[26:27]
	s_delay_alu instid0(VALU_DEP_4) | instskip(SKIP_1) | instid1(VALU_DEP_4)
	v_mul_f64 v[147:148], v[143:144], s[24:25]
	v_mul_f64 v[187:188], v[143:144], s[34:35]
	;; [unrolled: 1-line block ×10, first 2 shown]
	s_waitcnt vmcnt(1)
	v_mul_f64 v[32:33], v[36:37], v[44:45]
	s_delay_alu instid0(VALU_DEP_1) | instskip(SKIP_1) | instid1(VALU_DEP_1)
	v_fma_f64 v[32:33], v[34:35], v[42:43], v[32:33]
	v_mul_f64 v[34:35], v[34:35], v[44:45]
	v_fma_f64 v[34:35], v[36:37], v[42:43], -v[34:35]
	ds_load_b128 v[42:45], v96 offset:1248
	ds_load_b128 v[60:63], v96 offset:1456
	s_waitcnt vmcnt(0) lgkmcnt(1)
	v_mul_f64 v[36:37], v[44:45], v[54:55]
	v_mul_f64 v[38:39], v[42:43], v[54:55]
	s_delay_alu instid0(VALU_DEP_2) | instskip(NEXT) | instid1(VALU_DEP_2)
	v_fma_f64 v[36:37], v[42:43], v[52:53], v[36:37]
	v_fma_f64 v[38:39], v[44:45], v[52:53], -v[38:39]
	s_clause 0x1
	global_load_b128 v[42:45], v41, s[12:13] offset:96
	global_load_b128 v[52:55], v41, s[12:13] offset:112
	s_waitcnt vmcnt(0) lgkmcnt(0)
	s_barrier
	buffer_gl0_inv
	v_mul_f64 v[40:41], v[62:63], v[44:45]
	v_mul_f64 v[44:45], v[60:61], v[44:45]
	;; [unrolled: 1-line block ×3, first 2 shown]
	s_delay_alu instid0(VALU_DEP_3) | instskip(NEXT) | instid1(VALU_DEP_3)
	v_fma_f64 v[40:41], v[60:61], v[42:43], v[40:41]
	v_fma_f64 v[42:43], v[62:63], v[42:43], -v[44:45]
	v_mul_f64 v[44:45], v[58:59], v[54:55]
	s_delay_alu instid0(VALU_DEP_4) | instskip(NEXT) | instid1(VALU_DEP_4)
	v_fma_f64 v[46:47], v[58:59], v[52:53], -v[46:47]
	v_add_f64 v[169:170], v[36:37], v[40:41]
	s_delay_alu instid0(VALU_DEP_4) | instskip(NEXT) | instid1(VALU_DEP_4)
	v_add_f64 v[167:168], v[38:39], -v[42:43]
	v_fma_f64 v[44:45], v[56:57], v[52:53], v[44:45]
	v_add_f64 v[52:53], v[50:51], -v[4:5]
	v_add_f64 v[155:156], v[34:35], -v[46:47]
	v_add_f64 v[161:162], v[34:35], v[46:47]
	v_add_f64 v[173:174], v[38:39], v[42:43]
	v_add_f64 v[175:176], v[36:37], -v[40:41]
	v_mul_f64 v[171:172], v[167:168], s[22:23]
	v_add_f64 v[157:158], v[32:33], v[44:45]
	v_mul_f64 v[54:55], v[52:53], s[46:47]
	v_mul_f64 v[56:57], v[52:53], s[28:29]
	;; [unrolled: 1-line block ×7, first 2 shown]
	v_add_f64 v[163:164], v[32:33], -v[44:45]
	v_mul_f64 v[165:166], v[161:162], s[10:11]
	v_mul_f64 v[177:178], v[173:174], s[8:9]
	;; [unrolled: 1-line block ×18, first 2 shown]
	v_fma_f64 v[66:67], v[64:65], s[20:21], v[54:55]
	v_fma_f64 v[68:69], v[64:65], s[20:21], -v[54:55]
	v_fma_f64 v[70:71], v[64:65], s[18:19], v[56:57]
	v_fma_f64 v[56:57], v[64:65], s[18:19], -v[56:57]
	;; [unrolled: 2-line block ×6, first 2 shown]
	v_add_f64 v[52:53], v[50:51], v[4:5]
	v_add_f64 v[50:51], v[2:3], v[50:51]
	s_delay_alu instid0(VALU_DEP_4) | instskip(NEXT) | instid1(VALU_DEP_4)
	v_add_f64 v[125:126], v[0:1], v[101:102]
	v_add_f64 v[127:128], v[0:1], v[64:65]
	s_delay_alu instid0(VALU_DEP_4)
	v_mul_f64 v[54:55], v[52:53], s[20:21]
	v_mul_f64 v[58:59], v[52:53], s[18:19]
	;; [unrolled: 1-line block ×6, first 2 shown]
	v_add_f64 v[14:15], v[50:51], v[14:15]
	v_fma_f64 v[107:108], v[105:106], s[42:43], v[54:55]
	v_fma_f64 v[109:110], v[105:106], s[46:47], v[54:55]
	;; [unrolled: 1-line block ×12, first 2 shown]
	v_add_f64 v[52:53], v[0:1], v[66:67]
	v_add_f64 v[66:67], v[0:1], v[68:69]
	;; [unrolled: 1-line block ×24, first 2 shown]
	v_mul_f64 v[2:3], v[131:132], s[28:29]
	v_add_f64 v[14:15], v[14:15], v[28:29]
	s_delay_alu instid0(VALU_DEP_2) | instskip(NEXT) | instid1(VALU_DEP_2)
	v_fma_f64 v[64:65], v[0:1], s[18:19], -v[2:3]
	v_add_f64 v[14:15], v[14:15], v[34:35]
	s_delay_alu instid0(VALU_DEP_2) | instskip(SKIP_4) | instid1(VALU_DEP_4)
	v_add_f64 v[97:98], v[64:65], v[66:67]
	v_add_f64 v[64:65], v[16:17], -v[10:11]
	v_mul_f64 v[66:67], v[133:134], s[18:19]
	v_add_f64 v[16:17], v[48:49], v[16:17]
	v_add_f64 v[14:15], v[14:15], v[38:39]
	v_fma_f64 v[103:104], v[64:65], s[36:37], v[181:182]
	s_delay_alu instid0(VALU_DEP_4) | instskip(NEXT) | instid1(VALU_DEP_4)
	v_fma_f64 v[72:73], v[64:65], s[28:29], v[66:67]
	v_add_f64 v[16:17], v[16:17], v[22:23]
	s_delay_alu instid0(VALU_DEP_4) | instskip(NEXT) | instid1(VALU_DEP_4)
	v_add_f64 v[14:15], v[14:15], v[42:43]
	v_add_f64 v[103:104], v[103:104], v[109:110]
	s_delay_alu instid0(VALU_DEP_4) | instskip(SKIP_4) | instid1(VALU_DEP_4)
	v_add_f64 v[99:100], v[72:73], v[68:69]
	v_add_f64 v[68:69], v[22:23], v[18:19]
	v_mul_f64 v[72:73], v[135:136], s[44:45]
	v_add_f64 v[16:17], v[16:17], v[30:31]
	v_add_f64 v[14:15], v[14:15], v[46:47]
	v_fma_f64 v[105:106], v[68:69], s[8:9], v[183:184]
	s_delay_alu instid0(VALU_DEP_4) | instskip(SKIP_3) | instid1(VALU_DEP_4)
	v_fma_f64 v[101:102], v[68:69], s[16:17], -v[72:73]
	v_fma_f64 v[109:110], v[68:69], s[14:15], v[203:204]
	v_add_f64 v[16:17], v[16:17], v[32:33]
	v_add_f64 v[14:15], v[14:15], v[24:25]
	;; [unrolled: 1-line block ×3, first 2 shown]
	v_fma_f64 v[101:102], v[139:140], s[44:45], v[141:142]
	s_delay_alu instid0(VALU_DEP_4) | instskip(NEXT) | instid1(VALU_DEP_4)
	v_add_f64 v[16:17], v[16:17], v[36:37]
	v_add_f64 v[12:13], v[14:15], v[12:13]
	s_delay_alu instid0(VALU_DEP_3) | instskip(SKIP_1) | instid1(VALU_DEP_4)
	v_add_f64 v[99:100], v[101:102], v[99:100]
	v_fma_f64 v[101:102], v[145:146], s[14:15], -v[147:148]
	v_add_f64 v[16:17], v[16:17], v[40:41]
	s_delay_alu instid0(VALU_DEP_4) | instskip(NEXT) | instid1(VALU_DEP_3)
	v_add_f64 v[8:9], v[12:13], v[8:9]
	v_add_f64 v[97:98], v[101:102], v[97:98]
	v_fma_f64 v[101:102], v[151:152], s[24:25], v[153:154]
	s_delay_alu instid0(VALU_DEP_4) | instskip(NEXT) | instid1(VALU_DEP_4)
	v_add_f64 v[16:17], v[16:17], v[44:45]
	v_add_f64 v[8:9], v[8:9], v[4:5]
	s_delay_alu instid0(VALU_DEP_3) | instskip(SKIP_1) | instid1(VALU_DEP_4)
	v_add_f64 v[99:100], v[101:102], v[99:100]
	v_fma_f64 v[101:102], v[157:158], s[10:11], -v[159:160]
	v_add_f64 v[16:17], v[16:17], v[26:27]
	s_delay_alu instid0(VALU_DEP_2) | instskip(SKIP_1) | instid1(VALU_DEP_3)
	v_add_f64 v[97:98], v[101:102], v[97:98]
	v_fma_f64 v[101:102], v[163:164], s[30:31], v[165:166]
	v_add_f64 v[16:17], v[16:17], v[18:19]
	s_delay_alu instid0(VALU_DEP_2) | instskip(SKIP_1) | instid1(VALU_DEP_3)
	v_add_f64 v[99:100], v[101:102], v[99:100]
	v_fma_f64 v[101:102], v[169:170], s[8:9], -v[171:172]
	v_add_f64 v[10:11], v[16:17], v[10:11]
	s_delay_alu instid0(VALU_DEP_2) | instskip(SKIP_1) | instid1(VALU_DEP_3)
	v_add_f64 v[97:98], v[101:102], v[97:98]
	v_fma_f64 v[101:102], v[175:176], s[22:23], v[177:178]
	v_add_f64 v[6:7], v[10:11], v[6:7]
	s_delay_alu instid0(VALU_DEP_2) | instskip(SKIP_1) | instid1(VALU_DEP_1)
	v_add_f64 v[99:100], v[101:102], v[99:100]
	v_fma_f64 v[101:102], v[0:1], s[14:15], v[179:180]
	v_add_f64 v[101:102], v[101:102], v[107:108]
	v_fma_f64 v[107:108], v[64:65], s[26:27], v[201:202]
	s_delay_alu instid0(VALU_DEP_2) | instskip(SKIP_1) | instid1(VALU_DEP_3)
	v_add_f64 v[101:102], v[105:106], v[101:102]
	v_fma_f64 v[105:106], v[139:140], s[26:27], v[185:186]
	v_add_f64 v[107:108], v[107:108], v[113:114]
	v_fma_f64 v[113:114], v[68:69], s[20:21], v[223:224]
	s_delay_alu instid0(VALU_DEP_3) | instskip(SKIP_1) | instid1(VALU_DEP_1)
	v_add_f64 v[103:104], v[105:106], v[103:104]
	v_fma_f64 v[105:106], v[145:146], s[10:11], v[187:188]
	v_add_f64 v[101:102], v[105:106], v[101:102]
	v_fma_f64 v[105:106], v[151:152], s[30:31], v[189:190]
	s_delay_alu instid0(VALU_DEP_1) | instskip(SKIP_1) | instid1(VALU_DEP_1)
	v_add_f64 v[103:104], v[105:106], v[103:104]
	v_fma_f64 v[105:106], v[157:158], s[16:17], v[191:192]
	v_add_f64 v[101:102], v[105:106], v[101:102]
	v_fma_f64 v[105:106], v[163:164], s[44:45], v[193:194]
	s_delay_alu instid0(VALU_DEP_1) | instskip(SKIP_1) | instid1(VALU_DEP_1)
	v_add_f64 v[103:104], v[105:106], v[103:104]
	v_fma_f64 v[105:106], v[169:170], s[20:21], v[195:196]
	v_add_f64 v[101:102], v[105:106], v[101:102]
	v_fma_f64 v[105:106], v[175:176], s[46:47], v[197:198]
	s_delay_alu instid0(VALU_DEP_1) | instskip(SKIP_1) | instid1(VALU_DEP_1)
	v_add_f64 v[103:104], v[105:106], v[103:104]
	v_fma_f64 v[105:106], v[0:1], s[8:9], v[199:200]
	v_add_f64 v[105:106], v[105:106], v[111:112]
	v_fma_f64 v[111:112], v[64:65], s[30:31], v[221:222]
	s_delay_alu instid0(VALU_DEP_2) | instskip(SKIP_1) | instid1(VALU_DEP_3)
	v_add_f64 v[105:106], v[109:110], v[105:106]
	v_fma_f64 v[109:110], v[139:140], s[24:25], v[205:206]
	v_add_f64 v[111:112], v[111:112], v[117:118]
	v_fma_f64 v[117:118], v[68:69], s[18:19], v[243:244]
	s_delay_alu instid0(VALU_DEP_3) | instskip(SKIP_1) | instid1(VALU_DEP_1)
	v_add_f64 v[107:108], v[109:110], v[107:108]
	v_fma_f64 v[109:110], v[145:146], s[20:21], v[207:208]
	v_add_f64 v[105:106], v[109:110], v[105:106]
	v_fma_f64 v[109:110], v[151:152], s[46:47], v[209:210]
	s_delay_alu instid0(VALU_DEP_1) | instskip(SKIP_1) | instid1(VALU_DEP_1)
	v_add_f64 v[107:108], v[109:110], v[107:108]
	v_fma_f64 v[109:110], v[157:158], s[18:19], v[211:212]
	v_add_f64 v[105:106], v[109:110], v[105:106]
	v_fma_f64 v[109:110], v[163:164], s[40:41], v[213:214]
	s_delay_alu instid0(VALU_DEP_1) | instskip(SKIP_1) | instid1(VALU_DEP_1)
	;; [unrolled: 5-line block ×3, first 2 shown]
	v_add_f64 v[107:108], v[109:110], v[107:108]
	v_fma_f64 v[109:110], v[0:1], s[10:11], v[219:220]
	v_add_f64 v[109:110], v[109:110], v[115:116]
	v_fma_f64 v[115:116], v[64:65], s[44:45], v[241:242]
	s_delay_alu instid0(VALU_DEP_2) | instskip(SKIP_1) | instid1(VALU_DEP_3)
	v_add_f64 v[109:110], v[113:114], v[109:110]
	v_fma_f64 v[113:114], v[139:140], s[46:47], v[225:226]
	v_add_f64 v[115:116], v[115:116], v[121:122]
	v_mul_f64 v[121:122], v[131:132], s[42:43]
	s_delay_alu instid0(VALU_DEP_3) | instskip(SKIP_1) | instid1(VALU_DEP_1)
	v_add_f64 v[111:112], v[113:114], v[111:112]
	v_fma_f64 v[113:114], v[145:146], s[16:17], v[227:228]
	v_add_f64 v[109:110], v[113:114], v[109:110]
	v_fma_f64 v[113:114], v[151:152], s[38:39], v[229:230]
	s_delay_alu instid0(VALU_DEP_1) | instskip(SKIP_1) | instid1(VALU_DEP_1)
	v_add_f64 v[111:112], v[113:114], v[111:112]
	v_fma_f64 v[113:114], v[157:158], s[8:9], v[231:232]
	v_add_f64 v[109:110], v[113:114], v[109:110]
	v_fma_f64 v[113:114], v[163:164], s[22:23], v[233:234]
	s_delay_alu instid0(VALU_DEP_1) | instskip(SKIP_1) | instid1(VALU_DEP_1)
	;; [unrolled: 5-line block ×3, first 2 shown]
	v_add_f64 v[111:112], v[113:114], v[111:112]
	v_fma_f64 v[113:114], v[0:1], s[16:17], v[239:240]
	v_add_f64 v[113:114], v[113:114], v[119:120]
	s_delay_alu instid0(VALU_DEP_1) | instskip(SKIP_1) | instid1(VALU_DEP_1)
	v_add_f64 v[113:114], v[117:118], v[113:114]
	v_fma_f64 v[117:118], v[139:140], s[40:41], v[245:246]
	v_add_f64 v[115:116], v[117:118], v[115:116]
	v_fma_f64 v[117:118], v[145:146], s[8:9], v[247:248]
	s_delay_alu instid0(VALU_DEP_1) | instskip(SKIP_1) | instid1(VALU_DEP_1)
	v_add_f64 v[113:114], v[117:118], v[113:114]
	v_fma_f64 v[117:118], v[151:152], s[22:23], v[249:250]
	v_add_f64 v[115:116], v[117:118], v[115:116]
	v_fma_f64 v[117:118], v[157:158], s[20:21], v[251:252]
	;; [unrolled: 5-line block ×4, first 2 shown]
	v_fma_f64 v[121:122], v[0:1], s[20:21], -v[121:122]
	s_delay_alu instid0(VALU_DEP_2) | instskip(SKIP_1) | instid1(VALU_DEP_3)
	v_add_f64 v[117:118], v[117:118], v[125:126]
	v_mul_f64 v[125:126], v[133:134], s[20:21]
	v_add_f64 v[121:122], v[121:122], v[127:128]
	s_delay_alu instid0(VALU_DEP_2) | instskip(SKIP_1) | instid1(VALU_DEP_2)
	v_fma_f64 v[119:120], v[64:65], s[46:47], v[125:126]
	v_fma_f64 v[125:126], v[64:65], s[42:43], v[125:126]
	v_add_f64 v[119:120], v[119:120], v[123:124]
	v_mul_f64 v[123:124], v[135:136], s[30:31]
	s_delay_alu instid0(VALU_DEP_3) | instskip(NEXT) | instid1(VALU_DEP_2)
	v_add_f64 v[125:126], v[125:126], v[129:130]
	v_fma_f64 v[131:132], v[68:69], s[10:11], v[123:124]
	v_fma_f64 v[123:124], v[68:69], s[10:11], -v[123:124]
	s_delay_alu instid0(VALU_DEP_2) | instskip(SKIP_1) | instid1(VALU_DEP_3)
	v_add_f64 v[117:118], v[131:132], v[117:118]
	v_mul_f64 v[131:132], v[137:138], s[10:11]
	v_add_f64 v[121:122], v[123:124], v[121:122]
	s_delay_alu instid0(VALU_DEP_2) | instskip(SKIP_1) | instid1(VALU_DEP_2)
	v_fma_f64 v[133:134], v[139:140], s[34:35], v[131:132]
	v_fma_f64 v[123:124], v[139:140], s[30:31], v[131:132]
	v_add_f64 v[119:120], v[133:134], v[119:120]
	v_mul_f64 v[133:134], v[143:144], s[40:41]
	s_delay_alu instid0(VALU_DEP_3) | instskip(NEXT) | instid1(VALU_DEP_2)
	v_add_f64 v[123:124], v[123:124], v[125:126]
	v_fma_f64 v[135:136], v[145:146], s[18:19], v[133:134]
	v_fma_f64 v[125:126], v[145:146], s[18:19], -v[133:134]
	s_delay_alu instid0(VALU_DEP_2) | instskip(SKIP_1) | instid1(VALU_DEP_3)
	v_add_f64 v[117:118], v[135:136], v[117:118]
	v_mul_f64 v[135:136], v[149:150], s[18:19]
	v_add_f64 v[121:122], v[125:126], v[121:122]
	s_delay_alu instid0(VALU_DEP_2) | instskip(SKIP_1) | instid1(VALU_DEP_2)
	v_fma_f64 v[137:138], v[151:152], s[28:29], v[135:136]
	v_fma_f64 v[125:126], v[151:152], s[40:41], v[135:136]
	v_add_f64 v[119:120], v[137:138], v[119:120]
	v_mul_f64 v[137:138], v[155:156], s[24:25]
	s_delay_alu instid0(VALU_DEP_3) | instskip(SKIP_1) | instid1(VALU_DEP_3)
	v_add_f64 v[123:124], v[125:126], v[123:124]
	v_mul_f64 v[155:156], v[173:174], s[16:17]
	v_fma_f64 v[143:144], v[157:158], s[14:15], v[137:138]
	v_fma_f64 v[125:126], v[157:158], s[14:15], -v[137:138]
	s_delay_alu instid0(VALU_DEP_3) | instskip(NEXT) | instid1(VALU_DEP_3)
	v_fma_f64 v[127:128], v[175:176], s[38:39], v[155:156]
	v_add_f64 v[117:118], v[143:144], v[117:118]
	v_mul_f64 v[143:144], v[161:162], s[14:15]
	s_delay_alu instid0(VALU_DEP_4) | instskip(NEXT) | instid1(VALU_DEP_2)
	v_add_f64 v[121:122], v[125:126], v[121:122]
	v_fma_f64 v[149:150], v[163:164], s[36:37], v[143:144]
	v_fma_f64 v[125:126], v[163:164], s[24:25], v[143:144]
	s_delay_alu instid0(VALU_DEP_2) | instskip(SKIP_1) | instid1(VALU_DEP_3)
	v_add_f64 v[119:120], v[149:150], v[119:120]
	v_mul_f64 v[149:150], v[167:168], s[38:39]
	v_add_f64 v[123:124], v[125:126], v[123:124]
	s_delay_alu instid0(VALU_DEP_2) | instskip(NEXT) | instid1(VALU_DEP_2)
	v_fma_f64 v[125:126], v[169:170], s[16:17], -v[149:150]
	v_add_f64 v[123:124], v[127:128], v[123:124]
	v_fma_f64 v[161:162], v[169:170], s[16:17], v[149:150]
	s_delay_alu instid0(VALU_DEP_3) | instskip(SKIP_1) | instid1(VALU_DEP_3)
	v_add_f64 v[121:122], v[125:126], v[121:122]
	v_fma_f64 v[125:126], v[0:1], s[16:17], -v[239:240]
	v_add_f64 v[117:118], v[161:162], v[117:118]
	v_fma_f64 v[161:162], v[175:176], s[44:45], v[155:156]
	s_delay_alu instid0(VALU_DEP_3) | instskip(SKIP_1) | instid1(VALU_DEP_3)
	v_add_f64 v[78:79], v[125:126], v[78:79]
	v_fma_f64 v[125:126], v[64:65], s[38:39], v[241:242]
	v_add_f64 v[119:120], v[161:162], v[119:120]
	s_delay_alu instid0(VALU_DEP_2) | instskip(SKIP_1) | instid1(VALU_DEP_1)
	v_add_f64 v[76:77], v[125:126], v[76:77]
	v_fma_f64 v[125:126], v[68:69], s[18:19], -v[243:244]
	v_add_f64 v[78:79], v[125:126], v[78:79]
	v_fma_f64 v[125:126], v[139:140], s[28:29], v[245:246]
	s_delay_alu instid0(VALU_DEP_1) | instskip(SKIP_1) | instid1(VALU_DEP_1)
	v_add_f64 v[76:77], v[125:126], v[76:77]
	v_fma_f64 v[125:126], v[145:146], s[8:9], -v[247:248]
	v_add_f64 v[78:79], v[125:126], v[78:79]
	v_fma_f64 v[125:126], v[151:152], s[26:27], v[249:250]
	s_delay_alu instid0(VALU_DEP_1) | instskip(SKIP_1) | instid1(VALU_DEP_1)
	v_add_f64 v[76:77], v[125:126], v[76:77]
	v_fma_f64 v[125:126], v[157:158], s[20:21], -v[251:252]
	v_add_f64 v[78:79], v[125:126], v[78:79]
	v_fma_f64 v[125:126], v[163:164], s[42:43], v[253:254]
	s_delay_alu instid0(VALU_DEP_1) | instskip(SKIP_3) | instid1(VALU_DEP_3)
	v_add_f64 v[125:126], v[125:126], v[76:77]
	v_fma_f64 v[76:77], v[169:170], s[14:15], -v[80:81]
	v_fma_f64 v[80:81], v[175:176], s[24:25], v[82:83]
	v_fma_f64 v[82:83], v[175:176], s[40:41], v[237:238]
	v_add_f64 v[76:77], v[76:77], v[78:79]
	s_delay_alu instid0(VALU_DEP_3) | instskip(SKIP_1) | instid1(VALU_DEP_1)
	v_add_f64 v[78:79], v[80:81], v[125:126]
	v_fma_f64 v[80:81], v[0:1], s[10:11], -v[219:220]
	v_add_f64 v[74:75], v[80:81], v[74:75]
	v_fma_f64 v[80:81], v[64:65], s[34:35], v[221:222]
	s_delay_alu instid0(VALU_DEP_1) | instskip(SKIP_1) | instid1(VALU_DEP_1)
	v_add_f64 v[70:71], v[80:81], v[70:71]
	v_fma_f64 v[80:81], v[68:69], s[20:21], -v[223:224]
	v_add_f64 v[74:75], v[80:81], v[74:75]
	v_fma_f64 v[80:81], v[139:140], s[42:43], v[225:226]
	s_delay_alu instid0(VALU_DEP_1) | instskip(SKIP_1) | instid1(VALU_DEP_1)
	;; [unrolled: 5-line block ×3, first 2 shown]
	v_add_f64 v[70:71], v[80:81], v[70:71]
	v_fma_f64 v[80:81], v[157:158], s[8:9], -v[231:232]
	v_add_f64 v[74:75], v[80:81], v[74:75]
	v_fma_f64 v[80:81], v[163:164], s[26:27], v[233:234]
	s_delay_alu instid0(VALU_DEP_1) | instskip(SKIP_1) | instid1(VALU_DEP_2)
	v_add_f64 v[70:71], v[80:81], v[70:71]
	v_fma_f64 v[80:81], v[169:170], s[18:19], -v[235:236]
	v_add_f64 v[127:128], v[82:83], v[70:71]
	v_fma_f64 v[70:71], v[0:1], s[8:9], -v[199:200]
	s_delay_alu instid0(VALU_DEP_3) | instskip(SKIP_1) | instid1(VALU_DEP_3)
	v_add_f64 v[125:126], v[80:81], v[74:75]
	v_fma_f64 v[74:75], v[175:176], s[30:31], v[217:218]
	v_add_f64 v[62:63], v[70:71], v[62:63]
	v_fma_f64 v[70:71], v[64:65], s[22:23], v[201:202]
	s_delay_alu instid0(VALU_DEP_1) | instskip(SKIP_1) | instid1(VALU_DEP_1)
	v_add_f64 v[60:61], v[70:71], v[60:61]
	v_fma_f64 v[70:71], v[68:69], s[14:15], -v[203:204]
	v_add_f64 v[62:63], v[70:71], v[62:63]
	v_fma_f64 v[70:71], v[139:140], s[36:37], v[205:206]
	s_delay_alu instid0(VALU_DEP_1) | instskip(SKIP_1) | instid1(VALU_DEP_1)
	v_add_f64 v[60:61], v[70:71], v[60:61]
	v_fma_f64 v[70:71], v[145:146], s[20:21], -v[207:208]
	;; [unrolled: 5-line block ×4, first 2 shown]
	v_add_f64 v[60:61], v[60:61], v[62:63]
	s_delay_alu instid0(VALU_DEP_3)
	v_add_f64 v[62:63], v[74:75], v[70:71]
	v_fma_f64 v[70:71], v[0:1], s[14:15], -v[179:180]
	v_fma_f64 v[0:1], v[0:1], s[18:19], v[2:3]
	v_fma_f64 v[2:3], v[64:65], s[40:41], v[66:67]
	;; [unrolled: 1-line block ×4, first 2 shown]
	v_add_f64 v[58:59], v[70:71], v[58:59]
	v_fma_f64 v[70:71], v[64:65], s[24:25], v[181:182]
	v_fma_f64 v[64:65], v[68:69], s[16:17], v[72:73]
	v_add_f64 v[0:1], v[0:1], v[52:53]
	v_add_f64 v[2:3], v[2:3], v[54:55]
	v_fma_f64 v[52:53], v[145:146], s[14:15], v[147:148]
	v_fma_f64 v[54:55], v[151:152], s[36:37], v[153:154]
	v_add_f64 v[56:57], v[70:71], v[56:57]
	v_fma_f64 v[70:71], v[68:69], s[8:9], -v[183:184]
	v_add_f64 v[0:1], v[64:65], v[0:1]
	v_add_f64 v[2:3], v[66:67], v[2:3]
	v_fma_f64 v[64:65], v[157:158], s[10:11], v[159:160]
	v_fma_f64 v[66:67], v[163:164], s[34:35], v[165:166]
	v_add_f64 v[58:59], v[70:71], v[58:59]
	v_fma_f64 v[70:71], v[139:140], s[22:23], v[185:186]
	v_add_f64 v[0:1], v[52:53], v[0:1]
	v_add_f64 v[2:3], v[54:55], v[2:3]
	v_fma_f64 v[52:53], v[169:170], s[8:9], v[171:172]
	v_fma_f64 v[54:55], v[175:176], s[26:27], v[177:178]
	v_add_f64 v[56:57], v[70:71], v[56:57]
	v_fma_f64 v[70:71], v[145:146], s[10:11], -v[187:188]
	v_add_f64 v[0:1], v[64:65], v[0:1]
	v_add_f64 v[2:3], v[66:67], v[2:3]
	s_delay_alu instid0(VALU_DEP_3) | instskip(SKIP_1) | instid1(VALU_DEP_4)
	v_add_f64 v[58:59], v[70:71], v[58:59]
	v_fma_f64 v[70:71], v[151:152], s[34:35], v[189:190]
	v_add_f64 v[0:1], v[52:53], v[0:1]
	s_delay_alu instid0(VALU_DEP_4) | instskip(NEXT) | instid1(VALU_DEP_3)
	v_add_f64 v[2:3], v[54:55], v[2:3]
	v_add_f64 v[56:57], v[70:71], v[56:57]
	v_fma_f64 v[70:71], v[157:158], s[16:17], -v[191:192]
	s_delay_alu instid0(VALU_DEP_1) | instskip(SKIP_1) | instid1(VALU_DEP_1)
	v_add_f64 v[58:59], v[70:71], v[58:59]
	v_fma_f64 v[70:71], v[163:164], s[38:39], v[193:194]
	v_add_f64 v[70:71], v[70:71], v[56:57]
	v_fma_f64 v[56:57], v[169:170], s[20:21], -v[195:196]
	s_delay_alu instid0(VALU_DEP_1) | instskip(NEXT) | instid1(VALU_DEP_3)
	v_add_f64 v[56:57], v[56:57], v[58:59]
	v_add_f64 v[58:59], v[74:75], v[70:71]
	ds_store_b128 v96, v[101:104] offset:416
	ds_store_b128 v96, v[105:108] offset:624
	;; [unrolled: 1-line block ×12, first 2 shown]
	ds_store_b128 v96, v[6:9]
	s_waitcnt lgkmcnt(0)
	s_barrier
	buffer_gl0_inv
	s_and_saveexec_b32 s8, s33
	s_cbranch_execz .LBB0_16
; %bb.15:
	v_mad_u64_u32 v[0:1], null, s6, v94, 0
	v_mad_u64_u32 v[2:3], null, s4, v91, 0
	;; [unrolled: 1-line block ×3, first 2 shown]
	s_lshl_b64 s[0:1], s[0:1], 4
	v_mad_u64_u32 v[10:11], null, s4, v90, 0
	s_add_u32 s0, s2, s0
	s_delay_alu instid0(VALU_DEP_3) | instskip(NEXT) | instid1(VALU_DEP_3)
	v_mad_u64_u32 v[4:5], null, s7, v94, v[1:2]
	v_mov_b32_e32 v1, v9
	s_addc_u32 s1, s3, s1
	v_mad_u64_u32 v[14:15], null, s4, v89, 0
	s_delay_alu instid0(VALU_DEP_3)
	v_mad_u64_u32 v[5:6], null, s5, v91, v[3:4]
	s_clause 0x1
	scratch_load_b32 v3, off, off offset:4
	scratch_load_b32 v6, off, off offset:8
	s_waitcnt vmcnt(0)
	v_add3_u32 v25, 0, v6, v3
	v_mad_u64_u32 v[6:7], null, s5, v93, v[1:2]
	v_mov_b32_e32 v1, v4
	v_mov_b32_e32 v3, v5
	s_delay_alu instid0(VALU_DEP_2) | instskip(NEXT) | instid1(VALU_DEP_2)
	v_lshlrev_b64 v[0:1], 4, v[0:1]
	v_lshlrev_b64 v[12:13], 4, v[2:3]
	v_mov_b32_e32 v9, v6
	s_delay_alu instid0(VALU_DEP_3) | instskip(NEXT) | instid1(VALU_DEP_4)
	v_add_co_u32 v26, vcc_lo, s0, v0
	v_add_co_ci_u32_e32 v27, vcc_lo, s1, v1, vcc_lo
	ds_load_b128 v[0:3], v25
	ds_load_b128 v[4:7], v25 offset:208
	v_add_co_u32 v12, vcc_lo, v26, v12
	v_lshlrev_b64 v[8:9], 4, v[8:9]
	v_add_co_ci_u32_e32 v13, vcc_lo, v27, v13, vcc_lo
	s_delay_alu instid0(VALU_DEP_3) | instskip(SKIP_1) | instid1(VALU_DEP_4)
	v_mad_u64_u32 v[16:17], null, s5, v90, v[11:12]
	v_mov_b32_e32 v11, v15
	v_add_co_u32 v8, vcc_lo, v26, v8
	v_add_co_ci_u32_e32 v9, vcc_lo, v27, v9, vcc_lo
	s_delay_alu instid0(VALU_DEP_3)
	v_mad_u64_u32 v[17:18], null, s5, v89, v[11:12]
	v_mad_u64_u32 v[18:19], null, s4, v88, 0
	v_mov_b32_e32 v11, v16
	s_waitcnt lgkmcnt(1)
	global_store_b128 v[12:13], v[0:3], off
	s_waitcnt lgkmcnt(0)
	global_store_b128 v[8:9], v[4:7], off
	v_mov_b32_e32 v15, v17
	v_lshlrev_b64 v[8:9], 4, v[10:11]
	ds_load_b128 v[0:3], v25 offset:416
	ds_load_b128 v[4:7], v25 offset:624
	v_mov_b32_e32 v10, v19
	v_mad_u64_u32 v[12:13], null, s4, v87, 0
	v_lshlrev_b64 v[14:15], 4, v[14:15]
	v_add_co_u32 v20, vcc_lo, v26, v8
	s_delay_alu instid0(VALU_DEP_4)
	v_mad_u64_u32 v[16:17], null, s5, v88, v[10:11]
	v_add_co_ci_u32_e32 v21, vcc_lo, v27, v9, vcc_lo
	v_mov_b32_e32 v8, v13
	v_add_co_u32 v13, vcc_lo, v26, v14
	v_add_co_ci_u32_e32 v14, vcc_lo, v27, v15, vcc_lo
	v_mov_b32_e32 v19, v16
	s_delay_alu instid0(VALU_DEP_4)
	v_mad_u64_u32 v[15:16], null, s5, v87, v[8:9]
	ds_load_b128 v[8:11], v25 offset:832
	v_mad_u64_u32 v[16:17], null, s4, v86, 0
	s_waitcnt lgkmcnt(2)
	global_store_b128 v[20:21], v[0:3], off
	s_waitcnt lgkmcnt(1)
	global_store_b128 v[13:14], v[4:7], off
	v_lshlrev_b64 v[4:5], 4, v[18:19]
	ds_load_b128 v[0:3], v25 offset:1040
	v_mov_b32_e32 v13, v15
	v_mad_u64_u32 v[14:15], null, s4, v85, 0
	v_mov_b32_e32 v6, v17
	v_add_co_u32 v4, vcc_lo, v26, v4
	s_delay_alu instid0(VALU_DEP_4) | instskip(SKIP_1) | instid1(VALU_DEP_4)
	v_lshlrev_b64 v[12:13], 4, v[12:13]
	v_add_co_ci_u32_e32 v5, vcc_lo, v27, v5, vcc_lo
	v_mad_u64_u32 v[17:18], null, s5, v86, v[6:7]
	s_waitcnt lgkmcnt(1)
	global_store_b128 v[4:5], v[8:11], off
	v_add_co_u32 v5, vcc_lo, v26, v12
	v_mov_b32_e32 v4, v15
	v_add_co_ci_u32_e32 v6, vcc_lo, v27, v13, vcc_lo
	v_mad_u64_u32 v[12:13], null, s4, v84, 0
	s_delay_alu instid0(VALU_DEP_3) | instskip(SKIP_1) | instid1(VALU_DEP_3)
	v_mad_u64_u32 v[7:8], null, s5, v85, v[4:5]
	v_lshlrev_b64 v[8:9], 4, v[16:17]
	v_mov_b32_e32 v10, v13
	s_delay_alu instid0(VALU_DEP_2) | instskip(NEXT) | instid1(VALU_DEP_3)
	v_add_co_u32 v16, vcc_lo, v26, v8
	v_add_co_ci_u32_e32 v17, vcc_lo, v27, v9, vcc_lo
	s_delay_alu instid0(VALU_DEP_3)
	v_mad_u64_u32 v[18:19], null, s5, v84, v[10:11]
	ds_load_b128 v[8:11], v25 offset:1664
	s_waitcnt lgkmcnt(1)
	global_store_b128 v[5:6], v[0:3], off
	ds_load_b128 v[0:3], v25 offset:1248
	v_mov_b32_e32 v15, v7
	ds_load_b128 v[4:7], v25 offset:1456
	v_mad_u64_u32 v[19:20], null, s4, v255, 0
	v_lshlrev_b64 v[13:14], 4, v[14:15]
	s_delay_alu instid0(VALU_DEP_1) | instskip(SKIP_1) | instid1(VALU_DEP_3)
	v_add_co_u32 v21, vcc_lo, v26, v13
	v_mov_b32_e32 v13, v18
	v_add_co_ci_u32_e32 v22, vcc_lo, v27, v14, vcc_lo
	v_mad_u64_u32 v[14:15], null, s4, v95, 0
	s_waitcnt lgkmcnt(1)
	global_store_b128 v[16:17], v[0:3], off
	v_lshlrev_b64 v[1:2], 4, v[12:13]
	s_waitcnt lgkmcnt(0)
	global_store_b128 v[21:22], v[4:7], off
	v_mov_b32_e32 v0, v20
	v_add_co_u32 v12, vcc_lo, v26, v1
	v_add_co_ci_u32_e32 v13, vcc_lo, v27, v2, vcc_lo
	s_delay_alu instid0(VALU_DEP_3)
	v_mad_u64_u32 v[4:5], null, s5, v255, v[0:1]
	v_mad_u64_u32 v[5:6], null, s4, v92, 0
	global_store_b128 v[12:13], v[8:11], off
	scratch_load_b32 v12, off, off          ; 4-byte Folded Reload
	ds_load_b128 v[0:3], v25 offset:1872
	v_mov_b32_e32 v20, v4
	v_mov_b32_e32 v4, v6
	;; [unrolled: 1-line block ×3, first 2 shown]
	s_delay_alu instid0(VALU_DEP_3) | instskip(NEXT) | instid1(VALU_DEP_3)
	v_lshlrev_b64 v[7:8], 4, v[19:20]
	v_mad_u64_u32 v[9:10], null, s5, v92, v[4:5]
	s_delay_alu instid0(VALU_DEP_2) | instskip(SKIP_1) | instid1(VALU_DEP_3)
	v_mad_u64_u32 v[10:11], null, s5, v95, v[6:7]
	v_add_co_u32 v18, vcc_lo, v26, v7
	v_mov_b32_e32 v6, v9
	v_add_co_ci_u32_e32 v19, vcc_lo, v27, v8, vcc_lo
	s_delay_alu instid0(VALU_DEP_4) | instskip(NEXT) | instid1(VALU_DEP_1)
	v_mov_b32_e32 v15, v10
	v_lshlrev_b64 v[23:24], 4, v[14:15]
	s_waitcnt vmcnt(0)
	v_mad_u64_u32 v[16:17], null, s4, v12, 0
	s_delay_alu instid0(VALU_DEP_1) | instskip(NEXT) | instid1(VALU_DEP_1)
	v_mov_b32_e32 v4, v17
	v_mad_u64_u32 v[20:21], null, s5, v12, v[4:5]
	v_lshlrev_b64 v[21:22], 4, v[5:6]
	ds_load_b128 v[4:7], v25 offset:2080
	ds_load_b128 v[8:11], v25 offset:2288
	;; [unrolled: 1-line block ×3, first 2 shown]
	v_mov_b32_e32 v17, v20
	v_add_co_u32 v20, vcc_lo, v26, v21
	v_add_co_ci_u32_e32 v21, vcc_lo, v27, v22, vcc_lo
	s_delay_alu instid0(VALU_DEP_3) | instskip(SKIP_2) | instid1(VALU_DEP_3)
	v_lshlrev_b64 v[16:17], 4, v[16:17]
	v_add_co_u32 v22, vcc_lo, v26, v23
	v_add_co_ci_u32_e32 v23, vcc_lo, v27, v24, vcc_lo
	v_add_co_u32 v16, vcc_lo, v26, v16
	s_delay_alu instid0(VALU_DEP_4)
	v_add_co_ci_u32_e32 v17, vcc_lo, v27, v17, vcc_lo
	s_waitcnt lgkmcnt(3)
	global_store_b128 v[18:19], v[0:3], off
	s_waitcnt lgkmcnt(2)
	global_store_b128 v[20:21], v[4:7], off
	;; [unrolled: 2-line block ×4, first 2 shown]
.LBB0_16:
	s_nop 0
	s_sendmsg sendmsg(MSG_DEALLOC_VGPRS)
	s_endpgm
	.section	.rodata,"a",@progbits
	.p2align	6, 0x0
	.amdhsa_kernel fft_rtc_back_len169_factors_13_13_wgs_156_tpt_13_dp_ip_CI_sbcc
		.amdhsa_group_segment_fixed_size 0
		.amdhsa_private_segment_fixed_size 16
		.amdhsa_kernarg_size 96
		.amdhsa_user_sgpr_count 15
		.amdhsa_user_sgpr_dispatch_ptr 0
		.amdhsa_user_sgpr_queue_ptr 0
		.amdhsa_user_sgpr_kernarg_segment_ptr 1
		.amdhsa_user_sgpr_dispatch_id 0
		.amdhsa_user_sgpr_private_segment_size 0
		.amdhsa_wavefront_size32 1
		.amdhsa_uses_dynamic_stack 0
		.amdhsa_enable_private_segment 1
		.amdhsa_system_sgpr_workgroup_id_x 1
		.amdhsa_system_sgpr_workgroup_id_y 0
		.amdhsa_system_sgpr_workgroup_id_z 0
		.amdhsa_system_sgpr_workgroup_info 0
		.amdhsa_system_vgpr_workitem_id 0
		.amdhsa_next_free_vgpr 256
		.amdhsa_next_free_sgpr 48
		.amdhsa_reserve_vcc 1
		.amdhsa_float_round_mode_32 0
		.amdhsa_float_round_mode_16_64 0
		.amdhsa_float_denorm_mode_32 3
		.amdhsa_float_denorm_mode_16_64 3
		.amdhsa_dx10_clamp 1
		.amdhsa_ieee_mode 1
		.amdhsa_fp16_overflow 0
		.amdhsa_workgroup_processor_mode 1
		.amdhsa_memory_ordered 1
		.amdhsa_forward_progress 0
		.amdhsa_shared_vgpr_count 0
		.amdhsa_exception_fp_ieee_invalid_op 0
		.amdhsa_exception_fp_denorm_src 0
		.amdhsa_exception_fp_ieee_div_zero 0
		.amdhsa_exception_fp_ieee_overflow 0
		.amdhsa_exception_fp_ieee_underflow 0
		.amdhsa_exception_fp_ieee_inexact 0
		.amdhsa_exception_int_div_zero 0
	.end_amdhsa_kernel
	.text
.Lfunc_end0:
	.size	fft_rtc_back_len169_factors_13_13_wgs_156_tpt_13_dp_ip_CI_sbcc, .Lfunc_end0-fft_rtc_back_len169_factors_13_13_wgs_156_tpt_13_dp_ip_CI_sbcc
                                        ; -- End function
	.section	.AMDGPU.csdata,"",@progbits
; Kernel info:
; codeLenInByte = 12756
; NumSgprs: 50
; NumVgprs: 256
; ScratchSize: 16
; MemoryBound: 0
; FloatMode: 240
; IeeeMode: 1
; LDSByteSize: 0 bytes/workgroup (compile time only)
; SGPRBlocks: 6
; VGPRBlocks: 31
; NumSGPRsForWavesPerEU: 50
; NumVGPRsForWavesPerEU: 256
; Occupancy: 5
; WaveLimiterHint : 1
; COMPUTE_PGM_RSRC2:SCRATCH_EN: 1
; COMPUTE_PGM_RSRC2:USER_SGPR: 15
; COMPUTE_PGM_RSRC2:TRAP_HANDLER: 0
; COMPUTE_PGM_RSRC2:TGID_X_EN: 1
; COMPUTE_PGM_RSRC2:TGID_Y_EN: 0
; COMPUTE_PGM_RSRC2:TGID_Z_EN: 0
; COMPUTE_PGM_RSRC2:TIDIG_COMP_CNT: 0
	.text
	.p2alignl 7, 3214868480
	.fill 96, 4, 3214868480
	.type	__hip_cuid_facd4ed40dcea95b,@object ; @__hip_cuid_facd4ed40dcea95b
	.section	.bss,"aw",@nobits
	.globl	__hip_cuid_facd4ed40dcea95b
__hip_cuid_facd4ed40dcea95b:
	.byte	0                               ; 0x0
	.size	__hip_cuid_facd4ed40dcea95b, 1

	.ident	"AMD clang version 19.0.0git (https://github.com/RadeonOpenCompute/llvm-project roc-6.4.0 25133 c7fe45cf4b819c5991fe208aaa96edf142730f1d)"
	.section	".note.GNU-stack","",@progbits
	.addrsig
	.addrsig_sym __hip_cuid_facd4ed40dcea95b
	.amdgpu_metadata
---
amdhsa.kernels:
  - .args:
      - .actual_access:  read_only
        .address_space:  global
        .offset:         0
        .size:           8
        .value_kind:     global_buffer
      - .address_space:  global
        .offset:         8
        .size:           8
        .value_kind:     global_buffer
      - .offset:         16
        .size:           8
        .value_kind:     by_value
      - .actual_access:  read_only
        .address_space:  global
        .offset:         24
        .size:           8
        .value_kind:     global_buffer
      - .actual_access:  read_only
        .address_space:  global
        .offset:         32
        .size:           8
        .value_kind:     global_buffer
      - .offset:         40
        .size:           8
        .value_kind:     by_value
      - .actual_access:  read_only
        .address_space:  global
        .offset:         48
        .size:           8
        .value_kind:     global_buffer
      - .actual_access:  read_only
        .address_space:  global
        .offset:         56
        .size:           8
        .value_kind:     global_buffer
      - .offset:         64
        .size:           4
        .value_kind:     by_value
      - .actual_access:  read_only
        .address_space:  global
        .offset:         72
        .size:           8
        .value_kind:     global_buffer
      - .actual_access:  read_only
        .address_space:  global
        .offset:         80
        .size:           8
        .value_kind:     global_buffer
      - .address_space:  global
        .offset:         88
        .size:           8
        .value_kind:     global_buffer
    .group_segment_fixed_size: 0
    .kernarg_segment_align: 8
    .kernarg_segment_size: 96
    .language:       OpenCL C
    .language_version:
      - 2
      - 0
    .max_flat_workgroup_size: 156
    .name:           fft_rtc_back_len169_factors_13_13_wgs_156_tpt_13_dp_ip_CI_sbcc
    .private_segment_fixed_size: 16
    .sgpr_count:     50
    .sgpr_spill_count: 0
    .symbol:         fft_rtc_back_len169_factors_13_13_wgs_156_tpt_13_dp_ip_CI_sbcc.kd
    .uniform_work_group_size: 1
    .uses_dynamic_stack: false
    .vgpr_count:     256
    .vgpr_spill_count: 3
    .wavefront_size: 32
    .workgroup_processor_mode: 1
amdhsa.target:   amdgcn-amd-amdhsa--gfx1100
amdhsa.version:
  - 1
  - 2
...

	.end_amdgpu_metadata
